;; amdgpu-corpus repo=ROCm/rocFFT kind=compiled arch=gfx950 opt=O3
	.text
	.amdgcn_target "amdgcn-amd-amdhsa--gfx950"
	.amdhsa_code_object_version 6
	.protected	bluestein_single_fwd_len1040_dim1_dp_op_CI_CI ; -- Begin function bluestein_single_fwd_len1040_dim1_dp_op_CI_CI
	.globl	bluestein_single_fwd_len1040_dim1_dp_op_CI_CI
	.p2align	8
	.type	bluestein_single_fwd_len1040_dim1_dp_op_CI_CI,@function
bluestein_single_fwd_len1040_dim1_dp_op_CI_CI: ; @bluestein_single_fwd_len1040_dim1_dp_op_CI_CI
; %bb.0:
	s_load_dwordx4 s[8:11], s[0:1], 0x28
	v_mul_u32_u24_e32 v1, 0x13c, v0
	v_add_u32_sdwa v146, s2, v1 dst_sel:DWORD dst_unused:UNUSED_PAD src0_sel:DWORD src1_sel:WORD_1
	v_mov_b32_e32 v147, 0
	s_waitcnt lgkmcnt(0)
	v_cmp_gt_u64_e32 vcc, s[8:9], v[146:147]
	s_and_saveexec_b64 s[2:3], vcc
	s_cbranch_execz .LBB0_23
; %bb.1:
	s_load_dwordx2 s[8:9], s[0:1], 0x0
	s_load_dwordx2 s[12:13], s[0:1], 0x38
	s_movk_i32 s2, 0xd0
	v_mul_lo_u16_sdwa v1, v1, s2 dst_sel:DWORD dst_unused:UNUSED_PAD src0_sel:WORD_1 src1_sel:DWORD
	v_sub_u16_e32 v147, v0, v1
	s_movk_i32 s2, 0x50
	v_cmp_gt_u16_e32 vcc, s2, v147
	v_lshlrev_b32_e32 v144, 4, v147
	s_and_saveexec_b64 s[14:15], vcc
	s_cbranch_execz .LBB0_3
; %bb.2:
	s_load_dwordx2 s[2:3], s[0:1], 0x18
	v_mov_b32_e32 v0, s10
	v_mov_b32_e32 v1, s11
	;; [unrolled: 1-line block ×4, first 2 shown]
	s_waitcnt lgkmcnt(0)
	s_load_dwordx4 s[4:7], s[2:3], 0x0
	v_lshl_add_u64 v[86:87], s[8:9], 0, v[144:145]
	v_or_b32_e32 v70, 0x280, v147
	s_waitcnt lgkmcnt(0)
	v_mad_u64_u32 v[2:3], s[2:3], s6, v146, 0
	v_mad_u64_u32 v[4:5], s[2:3], s4, v147, 0
	v_mov_b32_e32 v6, v3
	v_mov_b32_e32 v8, v5
	v_mad_u64_u32 v[6:7], s[2:3], s7, v146, v[6:7]
	v_mov_b32_e32 v3, v6
	v_mad_u64_u32 v[6:7], s[2:3], s5, v147, v[8:9]
	v_mov_b32_e32 v5, v6
	v_lshl_add_u64 v[52:53], v[2:3], 4, v[0:1]
	v_lshl_add_u64 v[4:5], v[4:5], 4, v[52:53]
	v_mad_u64_u32 v[28:29], s[2:3], s4, v98, v[4:5]
	s_mul_i32 s6, s5, 0x500
	v_add_u32_e32 v29, s6, v29
	v_mad_u64_u32 v[30:31], s[2:3], s4, v98, v[28:29]
	v_add_u32_e32 v31, s6, v31
	v_mad_u64_u32 v[44:45], s[2:3], s4, v98, v[30:31]
	s_movk_i32 s2, 0x1000
	v_add_u32_e32 v45, s6, v45
	v_add_co_u32_e64 v62, s[2:3], s2, v86
	global_load_dwordx4 v[0:3], v[4:5], off
	s_nop 0
	v_addc_co_u32_e64 v63, s[2:3], 0, v87, s[2:3]
	v_mad_u64_u32 v[46:47], s[2:3], s4, v98, v[44:45]
	v_add_u32_e32 v47, s6, v47
	v_mad_u64_u32 v[48:49], s[2:3], s4, v98, v[46:47]
	v_add_u32_e32 v49, s6, v49
	v_mad_u64_u32 v[64:65], s[2:3], s4, v98, v[48:49]
	global_load_dwordx4 v[4:7], v144, s[8:9]
	global_load_dwordx4 v[8:11], v144, s[8:9] offset:1280
	s_movk_i32 s2, 0x2000
	v_add_co_u32_e64 v82, s[2:3], s2, v86
	global_load_dwordx4 v[16:19], v[28:29], off
	global_load_dwordx4 v[12:15], v[30:31], off
	global_load_dwordx4 v[20:23], v144, s[8:9] offset:2560
	global_load_dwordx4 v[24:27], v144, s[8:9] offset:3840
	v_add_u32_e32 v65, s6, v65
	v_addc_co_u32_e64 v83, s[2:3], 0, v87, s[2:3]
	v_mad_u64_u32 v[66:67], s[2:3], s4, v70, 0
	global_load_dwordx4 v[28:31], v[62:63], off offset:1024
	global_load_dwordx4 v[32:35], v[62:63], off offset:2304
	global_load_dwordx4 v[40:43], v[44:45], off
	global_load_dwordx4 v[36:39], v[46:47], off
	v_mad_u64_u32 v[74:75], s[2:3], s4, v98, v[64:65]
	global_load_dwordx4 v[44:47], v[48:49], off
	v_add_u32_e32 v75, s6, v75
	global_load_dwordx4 v[48:51], v[64:65], off
	global_load_dwordx4 v[54:57], v[62:63], off offset:3584
	global_load_dwordx4 v[58:61], v[82:83], off offset:768
	v_mov_b32_e32 v62, v67
	v_mad_u64_u32 v[62:63], s[2:3], s5, v70, v[62:63]
	v_mov_b32_e32 v67, v62
	v_lshl_add_u64 v[52:53], v[66:67], 4, v[52:53]
	global_load_dwordx4 v[66:69], v[52:53], off
	v_lshlrev_b32_e32 v52, 4, v70
	global_load_dwordx4 v[70:73], v52, s[8:9]
	v_mov_b32_e32 v52, 0xa00
	v_mad_u64_u32 v[52:53], s[2:3], s4, v52, v[74:75]
	global_load_dwordx4 v[62:65], v[74:75], off
	s_mul_i32 s2, s5, 0xa00
	v_add_u32_e32 v53, s2, v53
	global_load_dwordx4 v[74:77], v[52:53], off
	global_load_dwordx4 v[78:81], v[82:83], off offset:3328
	v_mad_u64_u32 v[52:53], s[2:3], s4, v98, v[52:53]
	s_movk_i32 s2, 0x3000
	s_nop 0
	v_add_co_u32_e64 v106, s[2:3], s2, v86
	v_add_u32_e32 v53, s6, v53
	s_nop 0
	v_addc_co_u32_e64 v107, s[2:3], 0, v87, s[2:3]
	global_load_dwordx4 v[82:85], v[52:53], off
	global_load_dwordx4 v[86:89], v[106:107], off offset:512
	v_mad_u64_u32 v[52:53], s[2:3], s4, v98, v[52:53]
	v_add_u32_e32 v53, s6, v53
	global_load_dwordx4 v[90:93], v[52:53], off
	global_load_dwordx4 v[94:97], v[106:107], off offset:1792
	v_mad_u64_u32 v[52:53], s[2:3], s4, v98, v[52:53]
	v_add_u32_e32 v53, s6, v53
	global_load_dwordx4 v[98:101], v[52:53], off
	global_load_dwordx4 v[102:105], v[106:107], off offset:3072
	s_waitcnt vmcnt(24)
	v_mul_f64 v[106:107], v[2:3], v[6:7]
	v_mul_f64 v[52:53], v[0:1], v[6:7]
	v_fmac_f64_e32 v[106:107], v[0:1], v[4:5]
	s_waitcnt vmcnt(22)
	v_mul_f64 v[0:1], v[16:17], v[10:11]
	v_fma_f64 v[108:109], v[2:3], v[4:5], -v[52:53]
	v_fma_f64 v[2:3], v[18:19], v[8:9], -v[0:1]
	v_mul_f64 v[0:1], v[18:19], v[10:11]
	v_fmac_f64_e32 v[0:1], v[16:17], v[8:9]
	s_waitcnt vmcnt(20)
	v_mul_f64 v[4:5], v[12:13], v[22:23]
	v_fma_f64 v[6:7], v[14:15], v[20:21], -v[4:5]
	v_mul_f64 v[4:5], v[14:15], v[22:23]
	s_waitcnt vmcnt(16)
	v_mul_f64 v[8:9], v[40:41], v[26:27]
	v_fma_f64 v[10:11], v[42:43], v[24:25], -v[8:9]
	v_mul_f64 v[8:9], v[42:43], v[26:27]
	v_fmac_f64_e32 v[4:5], v[12:13], v[20:21]
	v_fmac_f64_e32 v[8:9], v[40:41], v[24:25]
	ds_write_b128 v144, v[106:109]
	ds_write_b128 v144, v[0:3] offset:1280
	ds_write_b128 v144, v[4:7] offset:2560
	;; [unrolled: 1-line block ×3, first 2 shown]
	s_waitcnt vmcnt(15)
	v_mul_f64 v[0:1], v[38:39], v[30:31]
	v_mul_f64 v[2:3], v[36:37], v[30:31]
	v_fmac_f64_e32 v[0:1], v[36:37], v[28:29]
	v_fma_f64 v[2:3], v[38:39], v[28:29], -v[2:3]
	ds_write_b128 v144, v[0:3] offset:5120
	s_waitcnt vmcnt(14)
	v_mul_f64 v[0:1], v[46:47], v[34:35]
	v_mul_f64 v[2:3], v[44:45], v[34:35]
	v_fmac_f64_e32 v[0:1], v[44:45], v[32:33]
	v_fma_f64 v[2:3], v[46:47], v[32:33], -v[2:3]
	ds_write_b128 v144, v[0:3] offset:6400
	;; [unrolled: 6-line block ×4, first 2 shown]
	v_mul_f64 v[0:1], v[68:69], v[72:73]
	v_mul_f64 v[2:3], v[66:67], v[72:73]
	v_fmac_f64_e32 v[0:1], v[66:67], v[70:71]
	v_fma_f64 v[2:3], v[68:69], v[70:71], -v[2:3]
	ds_write_b128 v144, v[0:3] offset:10240
	s_waitcnt vmcnt(6)
	v_mul_f64 v[0:1], v[76:77], v[80:81]
	v_mul_f64 v[2:3], v[74:75], v[80:81]
	v_fmac_f64_e32 v[0:1], v[74:75], v[78:79]
	v_fma_f64 v[2:3], v[76:77], v[78:79], -v[2:3]
	ds_write_b128 v144, v[0:3] offset:11520
	s_waitcnt vmcnt(4)
	;; [unrolled: 6-line block ×4, first 2 shown]
	v_mul_f64 v[0:1], v[100:101], v[104:105]
	v_mul_f64 v[2:3], v[98:99], v[104:105]
	v_fmac_f64_e32 v[0:1], v[98:99], v[102:103]
	v_fma_f64 v[2:3], v[100:101], v[102:103], -v[2:3]
	ds_write_b128 v144, v[0:3] offset:15360
.LBB0_3:
	s_or_b64 exec, exec, s[14:15]
	s_waitcnt lgkmcnt(0)
	s_barrier
	s_waitcnt lgkmcnt(0)
                                        ; implicit-def: $vgpr0_vgpr1
                                        ; implicit-def: $vgpr4_vgpr5
                                        ; implicit-def: $vgpr24_vgpr25
                                        ; implicit-def: $vgpr48_vgpr49
                                        ; implicit-def: $vgpr40_vgpr41
                                        ; implicit-def: $vgpr32_vgpr33
                                        ; implicit-def: $vgpr16_vgpr17
                                        ; implicit-def: $vgpr8_vgpr9
                                        ; implicit-def: $vgpr12_vgpr13
                                        ; implicit-def: $vgpr20_vgpr21
                                        ; implicit-def: $vgpr28_vgpr29
                                        ; implicit-def: $vgpr36_vgpr37
                                        ; implicit-def: $vgpr44_vgpr45
	s_and_saveexec_b64 s[2:3], vcc
	s_cbranch_execz .LBB0_5
; %bb.4:
	ds_read_b128 v[0:3], v144
	ds_read_b128 v[44:47], v144 offset:1280
	ds_read_b128 v[36:39], v144 offset:2560
	;; [unrolled: 1-line block ×12, first 2 shown]
.LBB0_5:
	s_or_b64 exec, exec, s[2:3]
	s_waitcnt lgkmcnt(11)
	v_add_f64 v[52:53], v[0:1], v[44:45]
	v_add_f64 v[54:55], v[2:3], v[46:47]
	s_waitcnt lgkmcnt(10)
	v_add_f64 v[52:53], v[36:37], v[52:53]
	v_add_f64 v[54:55], v[38:39], v[54:55]
	;; [unrolled: 3-line block ×11, first 2 shown]
	s_mov_b32 s24, 0x42a4c3d2
	s_mov_b32 s26, 0x66966769
	;; [unrolled: 1-line block ×5, first 2 shown]
	s_waitcnt lgkmcnt(0)
	v_add_f64 v[60:61], v[48:49], v[52:53]
	v_add_f64 v[62:63], v[50:51], v[54:55]
	;; [unrolled: 1-line block ×3, first 2 shown]
	v_add_f64 v[50:51], v[46:47], -v[50:51]
	s_mov_b32 s19, 0xbfddbe06
	s_mov_b32 s18, 0x4267c47c
	;; [unrolled: 1-line block ×13, first 2 shown]
	v_add_f64 v[54:55], v[48:49], v[44:45]
	v_add_f64 v[48:49], v[44:45], -v[48:49]
	v_add_f64 v[46:47], v[40:41], v[36:37]
	v_add_f64 v[36:37], v[36:37], -v[40:41]
	;; [unrolled: 2-line block ×6, first 2 shown]
	v_mul_f64 v[8:9], v[50:51], s[18:19]
	s_mov_b32 s7, 0x3fec55a7
	s_mov_b32 s3, 0x3fe22d96
	v_mul_f64 v[56:57], v[50:51], s[24:25]
	s_mov_b32 s5, 0x3fbedb7d
	v_mul_f64 v[64:65], v[50:51], s[26:27]
	s_mov_b32 s11, 0xbfd6b1d8
	v_mul_f64 v[68:69], v[50:51], s[16:17]
	s_mov_b32 s15, 0xbfe7f3cc
	v_mul_f64 v[72:73], v[50:51], s[20:21]
	v_mul_f64 v[50:51], v[50:51], s[28:29]
	s_mov_b32 s23, 0xbfef11f4
	v_add_f64 v[44:45], v[42:43], v[38:39]
	v_add_f64 v[38:39], v[38:39], -v[42:43]
	v_add_f64 v[42:43], v[32:33], v[28:29]
	v_add_f64 v[28:29], v[28:29], -v[32:33]
	;; [unrolled: 2-line block ×5, first 2 shown]
	v_fma_f64 v[10:11], v[54:55], s[6:7], -v[8:9]
	v_fmac_f64_e32 v[8:9], s[6:7], v[54:55]
	v_fma_f64 v[58:59], v[54:55], s[2:3], -v[56:57]
	v_fmac_f64_e32 v[56:57], s[2:3], v[54:55]
	;; [unrolled: 2-line block ×6, first 2 shown]
	v_mul_f64 v[54:55], v[48:49], s[18:19]
	v_mul_f64 v[80:81], v[48:49], s[24:25]
	;; [unrolled: 1-line block ×6, first 2 shown]
	v_fma_f64 v[78:79], s[6:7], v[52:53], v[54:55]
	v_fma_f64 v[54:55], v[52:53], s[6:7], -v[54:55]
	v_fma_f64 v[82:83], s[2:3], v[52:53], v[80:81]
	v_fma_f64 v[80:81], v[52:53], s[2:3], -v[80:81]
	;; [unrolled: 2-line block ×6, first 2 shown]
	v_add_f64 v[98:99], v[0:1], v[10:11]
	v_add_f64 v[78:79], v[2:3], v[78:79]
	;; [unrolled: 1-line block ×24, first 2 shown]
	v_mul_f64 v[2:3], v[38:39], s[24:25]
	v_fma_f64 v[50:51], v[46:47], s[2:3], -v[2:3]
	v_mul_f64 v[52:53], v[36:37], s[24:25]
	v_mul_f64 v[68:69], v[30:31], s[26:27]
	v_add_f64 v[50:51], v[50:51], v[98:99]
	v_fma_f64 v[64:65], s[2:3], v[44:45], v[52:53]
	v_fma_f64 v[66:67], v[42:43], s[4:5], -v[68:69]
	v_mul_f64 v[70:71], v[28:29], s[26:27]
	v_add_f64 v[64:65], v[64:65], v[78:79]
	v_add_f64 v[50:51], v[66:67], v[50:51]
	v_fma_f64 v[66:67], s[4:5], v[40:41], v[70:71]
	v_mul_f64 v[72:73], v[22:23], s[16:17]
	v_add_f64 v[64:65], v[66:67], v[64:65]
	v_fma_f64 v[66:67], v[34:35], s[10:11], -v[72:73]
	v_mul_f64 v[74:75], v[20:21], s[16:17]
	v_add_f64 v[50:51], v[66:67], v[50:51]
	v_fma_f64 v[66:67], s[10:11], v[32:33], v[74:75]
	v_mul_f64 v[76:77], v[14:15], s[20:21]
	v_fmac_f64_e32 v[2:3], s[2:3], v[46:47]
	v_add_f64 v[64:65], v[66:67], v[64:65]
	v_fma_f64 v[66:67], v[26:27], s[14:15], -v[76:77]
	v_mul_f64 v[78:79], v[12:13], s[20:21]
	v_add_f64 v[2:3], v[2:3], v[100:101]
	v_fma_f64 v[52:53], v[44:45], s[2:3], -v[52:53]
	v_fmac_f64_e32 v[68:69], s[4:5], v[42:43]
	v_add_f64 v[50:51], v[66:67], v[50:51]
	v_fma_f64 v[66:67], s[14:15], v[24:25], v[78:79]
	v_mul_f64 v[88:89], v[6:7], s[28:29]
	v_add_f64 v[52:53], v[52:53], v[54:55]
	v_add_f64 v[2:3], v[68:69], v[2:3]
	v_fma_f64 v[54:55], v[40:41], s[4:5], -v[70:71]
	v_fmac_f64_e32 v[72:73], s[10:11], v[34:35]
	v_add_f64 v[66:67], v[66:67], v[64:65]
	v_fma_f64 v[64:65], v[18:19], s[22:23], -v[88:89]
	v_add_f64 v[52:53], v[54:55], v[52:53]
	v_add_f64 v[2:3], v[72:73], v[2:3]
	v_fma_f64 v[54:55], v[32:33], s[10:11], -v[74:75]
	v_fmac_f64_e32 v[76:77], s[14:15], v[26:27]
	v_add_f64 v[64:65], v[64:65], v[50:51]
	v_mul_f64 v[50:51], v[4:5], s[28:29]
	v_add_f64 v[52:53], v[54:55], v[52:53]
	v_add_f64 v[2:3], v[76:77], v[2:3]
	v_fma_f64 v[54:55], v[24:25], s[14:15], -v[78:79]
	v_fmac_f64_e32 v[88:89], s[22:23], v[18:19]
	v_add_f64 v[52:53], v[54:55], v[52:53]
	v_add_f64 v[72:73], v[88:89], v[2:3]
	v_fma_f64 v[2:3], v[16:17], s[22:23], -v[50:51]
	v_add_f64 v[74:75], v[2:3], v[52:53]
	v_mul_f64 v[2:3], v[38:39], s[16:17]
	v_fma_f64 v[90:91], s[22:23], v[16:17], v[50:51]
	v_fma_f64 v[50:51], v[46:47], s[10:11], -v[2:3]
	v_add_f64 v[50:51], v[50:51], v[58:59]
	v_mul_f64 v[52:53], v[36:37], s[16:17]
	v_mul_f64 v[58:59], v[30:31], s[28:29]
	v_fma_f64 v[54:55], s[10:11], v[44:45], v[52:53]
	v_fma_f64 v[68:69], v[42:43], s[22:23], -v[58:59]
	v_mul_f64 v[76:77], v[28:29], s[28:29]
	s_mov_b32 s35, 0x3fe5384d
	s_mov_b32 s34, s20
	v_add_f64 v[54:55], v[54:55], v[82:83]
	v_add_f64 v[50:51], v[68:69], v[50:51]
	v_fma_f64 v[68:69], s[22:23], v[40:41], v[76:77]
	v_mul_f64 v[78:79], v[22:23], s[34:35]
	v_add_f64 v[54:55], v[68:69], v[54:55]
	v_fma_f64 v[68:69], v[34:35], s[14:15], -v[78:79]
	v_mul_f64 v[82:83], v[20:21], s[34:35]
	s_mov_b32 s31, 0x3fefc445
	s_mov_b32 s30, s26
	v_add_f64 v[50:51], v[68:69], v[50:51]
	v_fma_f64 v[68:69], s[14:15], v[32:33], v[82:83]
	v_mul_f64 v[88:89], v[14:15], s[30:31]
	v_add_f64 v[66:67], v[90:91], v[66:67]
	v_add_f64 v[54:55], v[68:69], v[54:55]
	v_fma_f64 v[68:69], v[26:27], s[4:5], -v[88:89]
	v_mul_f64 v[90:91], v[12:13], s[30:31]
	s_mov_b32 s19, 0x3fddbe06
	v_add_f64 v[50:51], v[68:69], v[50:51]
	v_fma_f64 v[68:69], s[4:5], v[24:25], v[90:91]
	v_mul_f64 v[92:93], v[6:7], s[18:19]
	v_add_f64 v[54:55], v[68:69], v[54:55]
	v_fma_f64 v[68:69], v[18:19], s[6:7], -v[92:93]
	v_add_f64 v[68:69], v[68:69], v[50:51]
	v_mul_f64 v[50:51], v[4:5], s[18:19]
	v_fmac_f64_e32 v[2:3], s[10:11], v[46:47]
	v_fma_f64 v[70:71], s[6:7], v[16:17], v[50:51]
	v_add_f64 v[2:3], v[2:3], v[56:57]
	v_fma_f64 v[52:53], v[44:45], s[10:11], -v[52:53]
	v_fmac_f64_e32 v[58:59], s[22:23], v[42:43]
	v_add_f64 v[70:71], v[70:71], v[54:55]
	v_add_f64 v[52:53], v[52:53], v[80:81]
	;; [unrolled: 1-line block ×3, first 2 shown]
	v_fma_f64 v[54:55], v[40:41], s[22:23], -v[76:77]
	v_fmac_f64_e32 v[78:79], s[14:15], v[34:35]
	v_add_f64 v[52:53], v[54:55], v[52:53]
	v_add_f64 v[2:3], v[78:79], v[2:3]
	v_fma_f64 v[54:55], v[32:33], s[14:15], -v[82:83]
	v_fmac_f64_e32 v[88:89], s[4:5], v[26:27]
	v_add_f64 v[52:53], v[54:55], v[52:53]
	v_add_f64 v[2:3], v[88:89], v[2:3]
	;; [unrolled: 4-line block ×3, first 2 shown]
	v_fma_f64 v[2:3], v[16:17], s[6:7], -v[50:51]
	v_add_f64 v[82:83], v[2:3], v[52:53]
	v_mul_f64 v[2:3], v[38:39], s[28:29]
	s_mov_b32 s37, 0x3fedeba7
	s_mov_b32 s36, s16
	v_fma_f64 v[50:51], v[46:47], s[22:23], -v[2:3]
	v_mul_f64 v[56:57], v[30:31], s[36:37]
	v_add_f64 v[50:51], v[50:51], v[102:103]
	v_mul_f64 v[52:53], v[36:37], s[28:29]
	v_fma_f64 v[58:59], v[42:43], s[10:11], -v[56:57]
	v_fma_f64 v[54:55], s[22:23], v[44:45], v[52:53]
	v_add_f64 v[50:51], v[58:59], v[50:51]
	v_mul_f64 v[58:59], v[28:29], s[36:37]
	v_add_f64 v[54:55], v[54:55], v[86:87]
	v_fma_f64 v[76:77], s[10:11], v[40:41], v[58:59]
	v_mul_f64 v[86:87], v[22:23], s[18:19]
	v_add_f64 v[54:55], v[76:77], v[54:55]
	v_fma_f64 v[76:77], v[34:35], s[6:7], -v[86:87]
	v_mul_f64 v[88:89], v[20:21], s[18:19]
	v_add_f64 v[50:51], v[76:77], v[50:51]
	v_fma_f64 v[76:77], s[6:7], v[32:33], v[88:89]
	v_mul_f64 v[90:91], v[14:15], s[24:25]
	v_add_f64 v[54:55], v[76:77], v[54:55]
	v_fma_f64 v[76:77], v[26:27], s[2:3], -v[90:91]
	;; [unrolled: 6-line block ×3, first 2 shown]
	v_add_f64 v[76:77], v[76:77], v[50:51]
	v_mul_f64 v[50:51], v[4:5], s[20:21]
	v_fmac_f64_e32 v[2:3], s[22:23], v[46:47]
	v_fma_f64 v[78:79], s[14:15], v[16:17], v[50:51]
	v_add_f64 v[2:3], v[2:3], v[104:105]
	v_fma_f64 v[52:53], v[44:45], s[22:23], -v[52:53]
	v_fmac_f64_e32 v[56:57], s[10:11], v[42:43]
	v_add_f64 v[78:79], v[78:79], v[54:55]
	v_add_f64 v[52:53], v[52:53], v[84:85]
	;; [unrolled: 1-line block ×3, first 2 shown]
	v_fma_f64 v[54:55], v[40:41], s[10:11], -v[58:59]
	v_fmac_f64_e32 v[86:87], s[6:7], v[34:35]
	v_add_f64 v[52:53], v[54:55], v[52:53]
	v_add_f64 v[2:3], v[86:87], v[2:3]
	v_fma_f64 v[54:55], v[32:33], s[6:7], -v[88:89]
	v_fmac_f64_e32 v[90:91], s[2:3], v[26:27]
	v_add_f64 v[52:53], v[54:55], v[52:53]
	v_add_f64 v[2:3], v[90:91], v[2:3]
	;; [unrolled: 4-line block ×3, first 2 shown]
	v_fma_f64 v[2:3], v[16:17], s[14:15], -v[50:51]
	v_add_f64 v[90:91], v[2:3], v[52:53]
	v_mul_f64 v[2:3], v[38:39], s[34:35]
	v_fma_f64 v[50:51], v[46:47], s[14:15], -v[2:3]
	v_mul_f64 v[56:57], v[30:31], s[18:19]
	v_add_f64 v[50:51], v[50:51], v[106:107]
	v_mul_f64 v[52:53], v[36:37], s[34:35]
	v_fma_f64 v[58:59], v[42:43], s[6:7], -v[56:57]
	v_fma_f64 v[54:55], s[14:15], v[44:45], v[52:53]
	v_add_f64 v[50:51], v[58:59], v[50:51]
	v_mul_f64 v[58:59], v[28:29], s[18:19]
	v_add_f64 v[54:55], v[54:55], v[108:109]
	v_fma_f64 v[84:85], s[6:7], v[40:41], v[58:59]
	v_mul_f64 v[92:93], v[22:23], s[26:27]
	v_add_f64 v[54:55], v[84:85], v[54:55]
	v_fma_f64 v[84:85], v[34:35], s[4:5], -v[92:93]
	v_mul_f64 v[96:97], v[20:21], s[26:27]
	s_mov_b32 s29, 0x3fcea1e5
	v_add_f64 v[50:51], v[84:85], v[50:51]
	v_fma_f64 v[84:85], s[4:5], v[32:33], v[96:97]
	v_mul_f64 v[98:99], v[14:15], s[28:29]
	v_add_f64 v[54:55], v[84:85], v[54:55]
	v_fma_f64 v[84:85], v[26:27], s[22:23], -v[98:99]
	v_mul_f64 v[100:101], v[12:13], s[28:29]
	s_mov_b32 s27, 0x3fea55e2
	s_mov_b32 s26, s24
	v_add_f64 v[50:51], v[84:85], v[50:51]
	v_fma_f64 v[84:85], s[22:23], v[24:25], v[100:101]
	v_mul_f64 v[102:103], v[6:7], s[26:27]
	v_add_f64 v[54:55], v[84:85], v[54:55]
	v_fma_f64 v[84:85], v[18:19], s[2:3], -v[102:103]
	v_add_f64 v[84:85], v[84:85], v[50:51]
	v_mul_f64 v[50:51], v[4:5], s[26:27]
	v_fmac_f64_e32 v[2:3], s[14:15], v[46:47]
	v_fma_f64 v[86:87], s[2:3], v[16:17], v[50:51]
	v_add_f64 v[2:3], v[2:3], v[110:111]
	v_fma_f64 v[52:53], v[44:45], s[14:15], -v[52:53]
	v_fmac_f64_e32 v[56:57], s[6:7], v[42:43]
	v_add_f64 v[86:87], v[86:87], v[54:55]
	v_add_f64 v[52:53], v[52:53], v[112:113]
	v_add_f64 v[2:3], v[56:57], v[2:3]
	v_fma_f64 v[54:55], v[40:41], s[6:7], -v[58:59]
	v_fmac_f64_e32 v[92:93], s[4:5], v[34:35]
	v_add_f64 v[52:53], v[54:55], v[52:53]
	v_add_f64 v[2:3], v[92:93], v[2:3]
	v_fma_f64 v[54:55], v[32:33], s[4:5], -v[96:97]
	v_fmac_f64_e32 v[98:99], s[22:23], v[26:27]
	v_add_f64 v[52:53], v[54:55], v[52:53]
	v_add_f64 v[2:3], v[98:99], v[2:3]
	;; [unrolled: 4-line block ×3, first 2 shown]
	v_fma_f64 v[2:3], v[16:17], s[2:3], -v[50:51]
	v_add_f64 v[98:99], v[2:3], v[52:53]
	v_mul_f64 v[2:3], v[38:39], s[30:31]
	v_fma_f64 v[50:51], v[46:47], s[4:5], -v[2:3]
	v_mul_f64 v[56:57], v[30:31], s[24:25]
	v_add_f64 v[50:51], v[50:51], v[114:115]
	v_mul_f64 v[52:53], v[36:37], s[30:31]
	v_fma_f64 v[58:59], v[42:43], s[2:3], -v[56:57]
	v_fma_f64 v[54:55], s[4:5], v[44:45], v[52:53]
	v_add_f64 v[50:51], v[58:59], v[50:51]
	v_mul_f64 v[58:59], v[28:29], s[24:25]
	v_add_f64 v[54:55], v[54:55], v[94:95]
	v_fma_f64 v[92:93], s[2:3], v[40:41], v[58:59]
	v_mul_f64 v[100:101], v[22:23], s[28:29]
	v_add_f64 v[54:55], v[92:93], v[54:55]
	v_fma_f64 v[92:93], v[34:35], s[22:23], -v[100:101]
	v_mul_f64 v[102:103], v[20:21], s[28:29]
	v_add_f64 v[50:51], v[92:93], v[50:51]
	v_fma_f64 v[92:93], s[22:23], v[32:33], v[102:103]
	v_mul_f64 v[104:105], v[14:15], s[18:19]
	v_add_f64 v[54:55], v[92:93], v[54:55]
	v_fma_f64 v[92:93], v[26:27], s[6:7], -v[104:105]
	;; [unrolled: 6-line block ×3, first 2 shown]
	v_add_f64 v[92:93], v[92:93], v[50:51]
	v_mul_f64 v[50:51], v[4:5], s[16:17]
	v_fmac_f64_e32 v[2:3], s[4:5], v[46:47]
	v_fma_f64 v[94:95], s[10:11], v[16:17], v[50:51]
	v_add_f64 v[2:3], v[2:3], v[116:117]
	v_fma_f64 v[52:53], v[44:45], s[4:5], -v[52:53]
	v_fmac_f64_e32 v[56:57], s[2:3], v[42:43]
	v_add_f64 v[94:95], v[94:95], v[54:55]
	v_add_f64 v[52:53], v[52:53], v[118:119]
	;; [unrolled: 1-line block ×3, first 2 shown]
	v_fma_f64 v[54:55], v[40:41], s[2:3], -v[58:59]
	v_fmac_f64_e32 v[100:101], s[22:23], v[34:35]
	v_add_f64 v[52:53], v[54:55], v[52:53]
	v_add_f64 v[2:3], v[100:101], v[2:3]
	v_fma_f64 v[54:55], v[32:33], s[22:23], -v[102:103]
	v_fmac_f64_e32 v[104:105], s[6:7], v[26:27]
	v_add_f64 v[52:53], v[54:55], v[52:53]
	v_add_f64 v[2:3], v[104:105], v[2:3]
	;; [unrolled: 4-line block ×3, first 2 shown]
	v_fma_f64 v[2:3], v[16:17], s[10:11], -v[50:51]
	v_add_f64 v[102:103], v[2:3], v[52:53]
	v_mul_f64 v[2:3], v[38:39], s[18:19]
	v_fma_f64 v[38:39], v[46:47], s[6:7], -v[2:3]
	v_mul_f64 v[36:37], v[36:37], s[18:19]
	v_add_f64 v[38:39], v[38:39], v[48:49]
	v_fma_f64 v[48:49], s[6:7], v[44:45], v[36:37]
	v_mul_f64 v[30:31], v[30:31], s[20:21]
	v_add_f64 v[10:11], v[48:49], v[10:11]
	v_fma_f64 v[48:49], v[42:43], s[14:15], -v[30:31]
	v_mul_f64 v[28:29], v[28:29], s[20:21]
	v_add_f64 v[38:39], v[48:49], v[38:39]
	v_fma_f64 v[48:49], s[14:15], v[40:41], v[28:29]
	v_mul_f64 v[22:23], v[22:23], s[26:27]
	v_fmac_f64_e32 v[2:3], s[6:7], v[46:47]
	v_add_f64 v[10:11], v[48:49], v[10:11]
	v_fma_f64 v[48:49], v[34:35], s[2:3], -v[22:23]
	v_mul_f64 v[20:21], v[20:21], s[26:27]
	v_add_f64 v[2:3], v[2:3], v[8:9]
	v_fma_f64 v[8:9], v[44:45], s[6:7], -v[36:37]
	v_add_f64 v[38:39], v[48:49], v[38:39]
	v_fma_f64 v[48:49], s[2:3], v[32:33], v[20:21]
	v_mul_f64 v[14:15], v[14:15], s[16:17]
	v_add_f64 v[0:1], v[8:9], v[0:1]
	v_fmac_f64_e32 v[30:31], s[14:15], v[42:43]
	v_fma_f64 v[8:9], v[40:41], s[14:15], -v[28:29]
	v_add_f64 v[10:11], v[48:49], v[10:11]
	v_fma_f64 v[48:49], v[26:27], s[10:11], -v[14:15]
	v_mul_f64 v[12:13], v[12:13], s[16:17]
	v_add_f64 v[2:3], v[30:31], v[2:3]
	v_add_f64 v[0:1], v[8:9], v[0:1]
	v_fmac_f64_e32 v[22:23], s[2:3], v[34:35]
	v_fma_f64 v[8:9], v[32:33], s[2:3], -v[20:21]
	s_load_dwordx2 s[2:3], s[0:1], 0x8
	v_add_f64 v[38:39], v[48:49], v[38:39]
	v_fma_f64 v[48:49], s[10:11], v[24:25], v[12:13]
	v_mul_f64 v[6:7], v[6:7], s[30:31]
	v_add_f64 v[2:3], v[22:23], v[2:3]
	v_fmac_f64_e32 v[14:15], s[10:11], v[26:27]
	v_add_f64 v[10:11], v[48:49], v[10:11]
	v_fma_f64 v[48:49], v[18:19], s[4:5], -v[6:7]
	v_mul_f64 v[4:5], v[4:5], s[30:31]
	v_add_f64 v[0:1], v[8:9], v[0:1]
	v_add_f64 v[2:3], v[14:15], v[2:3]
	v_fma_f64 v[8:9], v[24:25], s[10:11], -v[12:13]
	v_fmac_f64_e32 v[6:7], s[4:5], v[18:19]
	v_add_f64 v[104:105], v[48:49], v[38:39]
	v_fma_f64 v[38:39], s[4:5], v[16:17], v[4:5]
	v_add_f64 v[0:1], v[8:9], v[0:1]
	v_add_f64 v[108:109], v[6:7], v[2:3]
	v_fma_f64 v[2:3], v[16:17], s[4:5], -v[4:5]
	v_add_f64 v[106:107], v[38:39], v[10:11]
	v_add_f64 v[110:111], v[2:3], v[0:1]
	v_mul_lo_u16_e32 v150, 13, v147
	s_waitcnt lgkmcnt(0)
	s_barrier
	s_and_saveexec_b64 s[4:5], vcc
	s_cbranch_execz .LBB0_7
; %bb.6:
	v_lshlrev_b32_e32 v0, 4, v150
	ds_write_b128 v0, v[60:63]
	ds_write_b128 v0, v[64:67] offset:16
	ds_write_b128 v0, v[68:71] offset:32
	;; [unrolled: 1-line block ×12, first 2 shown]
.LBB0_7:
	s_or_b64 exec, exec, s[4:5]
	s_load_dwordx2 s[4:5], s[0:1], 0x20
	s_movk_i32 s0, 0x41
	v_cmp_gt_u16_e64 s[0:1], s0, v147
	s_waitcnt lgkmcnt(0)
	s_barrier
	s_waitcnt lgkmcnt(0)
                                        ; implicit-def: $vgpr120_vgpr121
                                        ; implicit-def: $vgpr116_vgpr117
                                        ; implicit-def: $vgpr112_vgpr113
	s_and_saveexec_b64 s[6:7], s[0:1]
	s_cbranch_execz .LBB0_9
; %bb.8:
	ds_read_b128 v[60:63], v144
	ds_read_b128 v[64:67], v144 offset:1040
	ds_read_b128 v[68:71], v144 offset:2080
	;; [unrolled: 1-line block ×15, first 2 shown]
.LBB0_9:
	s_or_b64 exec, exec, s[6:7]
	s_movk_i32 s6, 0x4f
	v_mul_lo_u16_sdwa v0, v147, s6 dst_sel:DWORD dst_unused:UNUSED_PAD src0_sel:BYTE_0 src1_sel:DWORD
	v_lshrrev_b16_e32 v148, 10, v0
	v_mul_lo_u16_e32 v0, 13, v148
	v_sub_u16_e32 v0, v147, v0
	v_and_b32_e32 v149, 0xff, v0
	s_movk_i32 s6, 0xf0
	v_mov_b64_e32 v[0:1], s[2:3]
	v_mad_u64_u32 v[52:53], s[6:7], v149, s6, v[0:1]
	global_load_dwordx4 v[4:7], v[52:53], off
	global_load_dwordx4 v[20:23], v[52:53], off offset:16
	global_load_dwordx4 v[8:11], v[52:53], off offset:32
	;; [unrolled: 1-line block ×13, first 2 shown]
	s_nop 0
	global_load_dwordx4 v[52:55], v[52:53], off offset:224
	s_mov_b32 s6, 0x667f3bcd
	s_mov_b32 s7, 0xbfe6a09e
	;; [unrolled: 1-line block ×12, first 2 shown]
	s_waitcnt lgkmcnt(0)
	s_barrier
	s_waitcnt vmcnt(14)
	v_mul_f64 v[126:127], v[64:65], v[6:7]
	s_waitcnt vmcnt(13)
	v_mul_f64 v[130:131], v[68:69], v[22:23]
	;; [unrolled: 2-line block ×4, first 2 shown]
	v_mul_f64 v[138:139], v[84:85], v[2:3]
	s_waitcnt vmcnt(9)
	v_mul_f64 v[152:153], v[106:107], v[38:39]
	v_mul_f64 v[128:129], v[70:71], v[22:23]
	s_waitcnt vmcnt(7)
	v_mul_f64 v[160:161], v[102:103], v[14:15]
	;; [unrolled: 3-line block ×3, first 2 shown]
	s_waitcnt vmcnt(4)
	v_mul_f64 v[174:175], v[80:81], v[42:43]
	s_waitcnt vmcnt(3)
	v_mul_f64 v[176:177], v[74:75], v[30:31]
	v_mul_f64 v[178:179], v[72:73], v[30:31]
	s_waitcnt vmcnt(1)
	v_mul_f64 v[184:185], v[118:119], v[58:59]
	v_mul_f64 v[132:133], v[78:79], v[10:11]
	;; [unrolled: 1-line block ×9, first 2 shown]
	v_fmac_f64_e32 v[130:131], v[70:71], v[20:21]
	v_fmac_f64_e32 v[134:135], v[78:79], v[8:9]
	v_fma_f64 v[70:71], v[84:85], v[0:1], -v[136:137]
	v_fmac_f64_e32 v[138:139], v[86:87], v[0:1]
	v_fma_f64 v[78:79], v[104:105], v[36:37], -v[152:153]
	v_fma_f64 v[86:87], v[100:101], v[12:13], -v[160:161]
	v_fmac_f64_e32 v[162:163], v[102:103], v[12:13]
	v_fmac_f64_e32 v[170:171], v[90:91], v[44:45]
	;; [unrolled: 1-line block ×3, first 2 shown]
	v_fma_f64 v[72:73], v[72:73], v[28:29], -v[176:177]
	v_fmac_f64_e32 v[178:179], v[74:75], v[28:29]
	v_fma_f64 v[82:83], v[116:117], v[56:57], -v[184:185]
	v_mul_f64 v[124:125], v[66:67], v[6:7]
	v_mul_f64 v[166:167], v[96:97], v[34:35]
	;; [unrolled: 1-line block ×4, first 2 shown]
	v_fmac_f64_e32 v[126:127], v[66:67], v[4:5]
	v_fma_f64 v[66:67], v[68:69], v[20:21], -v[128:129]
	v_fma_f64 v[68:69], v[76:77], v[8:9], -v[132:133]
	;; [unrolled: 1-line block ×3, first 2 shown]
	v_fmac_f64_e32 v[142:143], v[94:95], v[16:17]
	v_fmac_f64_e32 v[154:155], v[106:107], v[36:37]
	v_fma_f64 v[92:93], v[96:97], v[32:33], -v[164:165]
	v_fma_f64 v[88:89], v[88:89], v[44:45], -v[168:169]
	v_fmac_f64_e32 v[186:187], v[118:119], v[56:57]
	v_add_f64 v[86:87], v[60:61], -v[86:87]
	v_add_f64 v[94:95], v[62:63], -v[162:163]
	;; [unrolled: 1-line block ×6, first 2 shown]
	v_fma_f64 v[74:75], v[112:113], v[48:49], -v[180:181]
	v_fmac_f64_e32 v[182:183], v[114:115], v[48:49]
	v_add_f64 v[88:89], v[66:67], -v[88:89]
	v_add_f64 v[104:105], v[154:155], -v[186:187]
	v_fma_f64 v[78:79], v[78:79], 2.0, -v[82:83]
	v_add_f64 v[112:113], v[86:87], -v[96:97]
	v_add_f64 v[114:115], v[94:95], v[72:73]
	v_add_f64 v[82:83], v[100:101], v[82:83]
	s_waitcnt vmcnt(0)
	v_mul_f64 v[188:189], v[122:123], v[54:55]
	v_mul_f64 v[190:191], v[120:121], v[54:55]
	v_fmac_f64_e32 v[166:167], v[98:99], v[32:33]
	v_fma_f64 v[60:61], v[60:61], 2.0, -v[86:87]
	v_fma_f64 v[62:63], v[62:63], 2.0, -v[94:95]
	;; [unrolled: 1-line block ×6, first 2 shown]
	v_add_f64 v[94:95], v[88:89], -v[104:105]
	v_fma_f64 v[96:97], v[100:101], 2.0, -v[82:83]
	v_mul_f64 v[156:157], v[110:111], v[26:27]
	v_mul_f64 v[158:159], v[108:109], v[26:27]
	v_fma_f64 v[64:65], v[64:65], v[4:5], -v[124:125]
	v_fma_f64 v[90:91], v[120:121], v[52:53], -v[188:189]
	v_fmac_f64_e32 v[190:191], v[122:123], v[52:53]
	v_fma_f64 v[66:67], v[66:67], 2.0, -v[88:89]
	v_fma_f64 v[88:89], v[88:89], 2.0, -v[94:95]
	v_fma_f64 v[120:121], s[6:7], v[96:97], v[86:87]
	v_fma_f64 v[122:123], s[10:11], v[94:95], v[112:113]
	;; [unrolled: 1-line block ×3, first 2 shown]
	v_fma_f64 v[84:85], v[108:109], v[24:25], -v[156:157]
	v_fmac_f64_e32 v[158:159], v[110:111], v[24:25]
	v_fma_f64 v[80:81], v[80:81], v[40:41], -v[172:173]
	v_fma_f64 v[102:103], v[130:131], 2.0, -v[100:101]
	v_fma_f64 v[100:101], s[6:7], v[88:89], v[72:73]
	v_fmac_f64_e32 v[120:121], s[10:11], v[88:89]
	v_fmac_f64_e32 v[122:123], s[6:7], v[82:83]
	;; [unrolled: 1-line block ×3, first 2 shown]
	v_add_f64 v[82:83], v[64:65], -v[92:93]
	v_add_f64 v[88:89], v[126:127], -v[166:167]
	;; [unrolled: 1-line block ×4, first 2 shown]
	v_fma_f64 v[106:107], v[154:155], 2.0, -v[104:105]
	v_fmac_f64_e32 v[100:101], s[6:7], v[96:97]
	v_fma_f64 v[96:97], v[142:143], 2.0, -v[94:95]
	v_add_f64 v[80:81], v[68:69], -v[80:81]
	v_add_f64 v[104:105], v[134:135], -v[174:175]
	;; [unrolled: 1-line block ×5, first 2 shown]
	v_add_f64 v[124:125], v[88:89], v[74:75]
	v_fma_f64 v[64:65], v[64:65], 2.0, -v[82:83]
	v_fma_f64 v[92:93], v[126:127], 2.0, -v[88:89]
	;; [unrolled: 1-line block ×6, first 2 shown]
	v_add_f64 v[88:89], v[80:81], -v[110:111]
	v_add_f64 v[90:91], v[104:105], v[90:91]
	v_fma_f64 v[108:109], v[134:135], 2.0, -v[104:105]
	v_fma_f64 v[104:105], v[104:105], 2.0, -v[90:91]
	v_fma_f64 v[134:135], s[10:11], v[88:89], v[94:95]
	v_fma_f64 v[68:69], v[68:69], 2.0, -v[80:81]
	v_fma_f64 v[116:117], v[158:159], 2.0, -v[110:111]
	;; [unrolled: 1-line block ×3, first 2 shown]
	v_fma_f64 v[132:133], s[6:7], v[104:105], v[82:83]
	v_fmac_f64_e32 v[134:135], s[6:7], v[90:91]
	v_fma_f64 v[136:137], s[10:11], v[90:91], v[124:125]
	v_add_f64 v[90:91], v[102:103], -v[106:107]
	v_fma_f64 v[130:131], s[6:7], v[80:81], v[74:75]
	v_fmac_f64_e32 v[132:133], s[10:11], v[80:81]
	v_fmac_f64_e32 v[136:137], s[10:11], v[88:89]
	v_add_f64 v[80:81], v[60:61], -v[70:71]
	v_add_f64 v[88:89], v[62:63], -v[98:99]
	;; [unrolled: 1-line block ×3, first 2 shown]
	v_fma_f64 v[70:71], v[102:103], 2.0, -v[90:91]
	v_add_f64 v[76:77], v[64:65], -v[76:77]
	v_add_f64 v[102:103], v[92:93], -v[96:97]
	;; [unrolled: 1-line block ×4, first 2 shown]
	v_fma_f64 v[60:61], v[60:61], 2.0, -v[80:81]
	v_fma_f64 v[62:63], v[62:63], 2.0, -v[88:89]
	;; [unrolled: 1-line block ×7, first 2 shown]
	v_add_f64 v[68:69], v[60:61], -v[66:67]
	v_add_f64 v[70:71], v[62:63], -v[70:71]
	;; [unrolled: 1-line block ×4, first 2 shown]
	v_fmac_f64_e32 v[130:131], s[6:7], v[104:105]
	v_fma_f64 v[60:61], v[60:61], 2.0, -v[68:69]
	v_fma_f64 v[62:63], v[62:63], 2.0, -v[70:71]
	;; [unrolled: 1-line block ×4, first 2 shown]
	v_add_f64 v[96:97], v[60:61], -v[64:65]
	v_add_f64 v[98:99], v[62:63], -v[66:67]
	v_fma_f64 v[64:65], v[72:73], 2.0, -v[100:101]
	v_fma_f64 v[66:67], v[86:87], 2.0, -v[120:121]
	;; [unrolled: 1-line block ×4, first 2 shown]
	v_fma_f64 v[104:105], s[14:15], v[72:73], v[64:65]
	v_fma_f64 v[106:107], s[14:15], v[74:75], v[66:67]
	v_add_f64 v[82:83], v[80:81], -v[90:91]
	v_add_f64 v[90:91], v[88:89], v[78:79]
	v_fmac_f64_e32 v[104:105], s[16:17], v[74:75]
	v_fmac_f64_e32 v[106:107], s[18:19], v[72:73]
	v_fma_f64 v[72:73], v[80:81], 2.0, -v[82:83]
	v_fma_f64 v[74:75], v[88:89], 2.0, -v[90:91]
	v_add_f64 v[80:81], v[76:77], -v[110:111]
	v_add_f64 v[88:89], v[102:103], v[84:85]
	v_fma_f64 v[76:77], v[76:77], 2.0, -v[80:81]
	v_fma_f64 v[78:79], v[102:103], 2.0, -v[88:89]
	v_fma_f64 v[108:109], s[6:7], v[76:77], v[72:73]
	v_fma_f64 v[110:111], s[6:7], v[78:79], v[74:75]
	v_fmac_f64_e32 v[108:109], s[6:7], v[78:79]
	v_fmac_f64_e32 v[110:111], s[10:11], v[76:77]
	v_fma_f64 v[116:117], v[112:113], 2.0, -v[122:123]
	v_fma_f64 v[118:119], v[114:115], 2.0, -v[128:129]
	;; [unrolled: 1-line block ×4, first 2 shown]
	v_fma_f64 v[84:85], s[10:11], v[80:81], v[82:83]
	v_fma_f64 v[112:113], s[16:17], v[76:77], v[116:117]
	;; [unrolled: 1-line block ×4, first 2 shown]
	v_fmac_f64_e32 v[84:85], s[6:7], v[88:89]
	v_fmac_f64_e32 v[112:113], s[14:15], v[78:79]
	;; [unrolled: 1-line block ×3, first 2 shown]
	v_fma_f64 v[76:77], s[18:19], v[130:131], v[100:101]
	v_fma_f64 v[78:79], s[18:19], v[132:133], v[120:121]
	v_fmac_f64_e32 v[86:87], s[10:11], v[80:81]
	v_fma_f64 v[88:89], v[82:83], 2.0, -v[84:85]
	v_fma_f64 v[80:81], s[20:21], v[134:135], v[122:123]
	v_fma_f64 v[82:83], s[20:21], v[136:137], v[128:129]
	v_fmac_f64_e32 v[76:77], s[14:15], v[132:133]
	v_fmac_f64_e32 v[78:79], s[20:21], v[130:131]
	v_fmac_f64_e32 v[80:81], s[16:17], v[136:137]
	v_fmac_f64_e32 v[82:83], s[18:19], v[134:135]
	v_add_f64 v[124:125], v[68:69], -v[138:139]
	v_add_f64 v[126:127], v[70:71], v[126:127]
	v_fma_f64 v[100:101], v[100:101], 2.0, -v[76:77]
	v_fma_f64 v[102:103], v[120:121], 2.0, -v[78:79]
	;; [unrolled: 1-line block ×5, first 2 shown]
	s_and_saveexec_b64 s[6:7], s[0:1]
	s_cbranch_execz .LBB0_11
; %bb.10:
	v_mul_u32_u24_e32 v120, 0xd0, v148
	v_or_b32_e32 v120, v120, v149
	v_fma_f64 v[62:63], v[62:63], 2.0, -v[98:99]
	v_fma_f64 v[60:61], v[60:61], 2.0, -v[96:97]
	v_lshlrev_b32_e32 v120, 4, v120
	v_fma_f64 v[70:71], v[70:71], 2.0, -v[126:127]
	v_fma_f64 v[68:69], v[68:69], 2.0, -v[124:125]
	;; [unrolled: 1-line block ×8, first 2 shown]
	ds_write_b128 v120, v[60:63]
	ds_write_b128 v120, v[64:67] offset:208
	ds_write_b128 v120, v[72:75] offset:416
	ds_write_b128 v120, v[116:119] offset:624
	ds_write_b128 v120, v[68:71] offset:832
	ds_write_b128 v120, v[100:103] offset:1040
	ds_write_b128 v120, v[88:91] offset:1248
	ds_write_b128 v120, v[92:95] offset:1456
	ds_write_b128 v120, v[96:99] offset:1664
	ds_write_b128 v120, v[104:107] offset:1872
	ds_write_b128 v120, v[108:111] offset:2080
	ds_write_b128 v120, v[112:115] offset:2288
	ds_write_b128 v120, v[124:127] offset:2496
	ds_write_b128 v120, v[76:79] offset:2704
	ds_write_b128 v120, v[84:87] offset:2912
	ds_write_b128 v120, v[80:83] offset:3120
.LBB0_11:
	s_or_b64 exec, exec, s[6:7]
	v_lshlrev_b32_e32 v72, 6, v147
	s_load_dwordx4 s[4:7], s[4:5], 0x0
	s_waitcnt lgkmcnt(0)
	s_barrier
	ds_read_b128 v[116:119], v144
	ds_read_b128 v[120:123], v144 offset:3328
	ds_read_b128 v[128:131], v144 offset:6656
	;; [unrolled: 1-line block ×4, first 2 shown]
	global_load_dwordx4 v[60:63], v72, s[2:3] offset:3168
	global_load_dwordx4 v[64:67], v72, s[2:3] offset:3152
	;; [unrolled: 1-line block ×3, first 2 shown]
	s_nop 0
	global_load_dwordx4 v[72:75], v72, s[2:3] offset:3120
	s_mov_b32 s14, 0x134454ff
	s_mov_b32 s15, 0x3fee6f0e
	;; [unrolled: 1-line block ×10, first 2 shown]
	s_waitcnt vmcnt(2) lgkmcnt(1)
	v_mul_f64 v[160:161], v[132:133], v[66:67]
	v_fmac_f64_e32 v[160:161], v[134:135], v[64:65]
	s_waitcnt vmcnt(0)
	v_mul_f64 v[140:141], v[122:123], v[74:75]
	v_fma_f64 v[142:143], v[120:121], v[72:73], -v[140:141]
	v_mul_f64 v[152:153], v[120:121], v[74:75]
	v_mul_f64 v[120:121], v[130:131], v[70:71]
	v_fma_f64 v[154:155], v[128:129], v[68:69], -v[120:121]
	v_mul_f64 v[120:121], v[134:135], v[66:67]
	v_fma_f64 v[158:159], v[132:133], v[64:65], -v[120:121]
	s_waitcnt lgkmcnt(0)
	v_mul_f64 v[120:121], v[138:139], v[62:63]
	v_fma_f64 v[134:135], v[136:137], v[60:61], -v[120:121]
	v_add_f64 v[120:121], v[116:117], v[142:143]
	v_add_f64 v[120:121], v[120:121], v[154:155]
	v_mul_f64 v[136:137], v[136:137], v[62:63]
	v_add_f64 v[120:121], v[120:121], v[158:159]
	v_fmac_f64_e32 v[152:153], v[122:123], v[72:73]
	v_mul_f64 v[156:157], v[128:129], v[70:71]
	v_fmac_f64_e32 v[136:137], v[138:139], v[60:61]
	v_add_f64 v[128:129], v[120:121], v[134:135]
	v_add_f64 v[120:121], v[154:155], v[158:159]
	v_fmac_f64_e32 v[156:157], v[130:131], v[68:69]
	v_fma_f64 v[120:121], -0.5, v[120:121], v[116:117]
	v_add_f64 v[122:123], v[152:153], -v[136:137]
	v_fma_f64 v[140:141], s[14:15], v[122:123], v[120:121]
	v_add_f64 v[130:131], v[156:157], -v[160:161]
	v_add_f64 v[132:133], v[142:143], -v[154:155]
	;; [unrolled: 1-line block ×3, first 2 shown]
	v_fmac_f64_e32 v[120:121], s[16:17], v[122:123]
	v_fmac_f64_e32 v[140:141], s[2:3], v[130:131]
	v_add_f64 v[132:133], v[132:133], v[138:139]
	v_fmac_f64_e32 v[120:121], s[18:19], v[130:131]
	v_fmac_f64_e32 v[140:141], s[10:11], v[132:133]
	;; [unrolled: 1-line block ×3, first 2 shown]
	v_add_f64 v[132:133], v[142:143], v[134:135]
	v_fmac_f64_e32 v[116:117], -0.5, v[132:133]
	v_fma_f64 v[132:133], s[16:17], v[130:131], v[116:117]
	v_fmac_f64_e32 v[116:117], s[14:15], v[130:131]
	v_fmac_f64_e32 v[132:133], s[2:3], v[122:123]
	;; [unrolled: 1-line block ×3, first 2 shown]
	v_add_f64 v[122:123], v[118:119], v[152:153]
	v_add_f64 v[122:123], v[122:123], v[156:157]
	v_add_f64 v[138:139], v[154:155], -v[142:143]
	v_add_f64 v[162:163], v[158:159], -v[134:135]
	v_add_f64 v[122:123], v[122:123], v[160:161]
	v_add_f64 v[138:139], v[138:139], v[162:163]
	;; [unrolled: 1-line block ×4, first 2 shown]
	v_fmac_f64_e32 v[132:133], s[10:11], v[138:139]
	v_fmac_f64_e32 v[116:117], s[10:11], v[138:139]
	v_fma_f64 v[122:123], -0.5, v[122:123], v[118:119]
	v_add_f64 v[138:139], v[142:143], -v[134:135]
	v_fma_f64 v[142:143], s[16:17], v[138:139], v[122:123]
	v_add_f64 v[154:155], v[154:155], -v[158:159]
	v_add_f64 v[134:135], v[152:153], -v[156:157]
	;; [unrolled: 1-line block ×3, first 2 shown]
	v_fmac_f64_e32 v[122:123], s[14:15], v[138:139]
	v_fmac_f64_e32 v[142:143], s[18:19], v[154:155]
	v_add_f64 v[134:135], v[134:135], v[158:159]
	v_fmac_f64_e32 v[122:123], s[2:3], v[154:155]
	v_fmac_f64_e32 v[142:143], s[10:11], v[134:135]
	;; [unrolled: 1-line block ×3, first 2 shown]
	v_add_f64 v[134:135], v[152:153], v[136:137]
	v_fmac_f64_e32 v[118:119], -0.5, v[134:135]
	v_fma_f64 v[134:135], s[14:15], v[154:155], v[118:119]
	v_add_f64 v[152:153], v[156:157], -v[152:153]
	v_add_f64 v[136:137], v[160:161], -v[136:137]
	v_fmac_f64_e32 v[118:119], s[16:17], v[154:155]
	v_fmac_f64_e32 v[134:135], s[18:19], v[138:139]
	v_add_f64 v[136:137], v[152:153], v[136:137]
	v_fmac_f64_e32 v[118:119], s[2:3], v[138:139]
	v_fmac_f64_e32 v[134:135], s[10:11], v[136:137]
	;; [unrolled: 1-line block ×3, first 2 shown]
	ds_write_b128 v144, v[128:131]
	ds_write_b128 v144, v[140:143] offset:3328
	ds_write_b128 v144, v[132:135] offset:6656
	ds_write_b128 v144, v[116:119] offset:9984
	ds_write_b128 v144, v[120:123] offset:13312
	s_waitcnt lgkmcnt(0)
	s_barrier
	s_and_saveexec_b64 s[10:11], vcc
	s_cbranch_execz .LBB0_13
; %bb.12:
	s_add_u32 s14, s8, 0x4100
	s_addc_u32 s15, s9, 0
	ds_read_b128 v[152:155], v144
	global_load_dwordx4 v[156:159], v144, s[14:15]
	v_mov_b32_e32 v145, 0
	v_lshl_add_u64 v[136:137], s[14:15], 0, v[144:145]
	s_movk_i32 s2, 0x1000
	v_or_b32_e32 v145, 0x2800, v144
	s_waitcnt vmcnt(0) lgkmcnt(0)
	v_mul_f64 v[138:139], v[154:155], v[158:159]
	v_mul_f64 v[162:163], v[152:153], v[158:159]
	v_fma_f64 v[160:161], v[152:153], v[156:157], -v[138:139]
	v_fmac_f64_e32 v[162:163], v[154:155], v[156:157]
	ds_read_b128 v[152:155], v144 offset:1280
	global_load_dwordx4 v[156:159], v144, s[14:15] offset:1280
	ds_write_b128 v144, v[160:163]
	s_waitcnt vmcnt(0) lgkmcnt(1)
	v_mul_f64 v[138:139], v[154:155], v[158:159]
	v_mul_f64 v[162:163], v[152:153], v[158:159]
	v_fma_f64 v[160:161], v[152:153], v[156:157], -v[138:139]
	v_fmac_f64_e32 v[162:163], v[154:155], v[156:157]
	ds_read_b128 v[152:155], v144 offset:2560
	global_load_dwordx4 v[156:159], v144, s[14:15] offset:2560
	ds_write_b128 v144, v[160:163] offset:1280
	s_waitcnt vmcnt(0) lgkmcnt(1)
	v_mul_f64 v[138:139], v[154:155], v[158:159]
	v_mul_f64 v[162:163], v[152:153], v[158:159]
	v_fma_f64 v[160:161], v[152:153], v[156:157], -v[138:139]
	v_fmac_f64_e32 v[162:163], v[154:155], v[156:157]
	ds_read_b128 v[152:155], v144 offset:3840
	global_load_dwordx4 v[156:159], v144, s[14:15] offset:3840
	ds_write_b128 v144, v[160:163] offset:2560
	s_waitcnt vmcnt(0) lgkmcnt(1)
	v_mul_f64 v[138:139], v[154:155], v[158:159]
	v_fma_f64 v[160:161], v[152:153], v[156:157], -v[138:139]
	v_add_co_u32_e64 v138, s[2:3], s2, v136
	v_mul_f64 v[162:163], v[152:153], v[158:159]
	s_nop 0
	v_addc_co_u32_e64 v139, s[2:3], 0, v137, s[2:3]
	v_fmac_f64_e32 v[162:163], v[154:155], v[156:157]
	global_load_dwordx4 v[156:159], v[138:139], off offset:1024
	ds_read_b128 v[152:155], v144 offset:5120
	ds_write_b128 v144, v[160:163] offset:3840
	s_movk_i32 s2, 0x2000
	s_waitcnt vmcnt(0) lgkmcnt(1)
	v_mul_f64 v[160:161], v[154:155], v[158:159]
	v_mul_f64 v[162:163], v[152:153], v[158:159]
	v_fma_f64 v[160:161], v[152:153], v[156:157], -v[160:161]
	v_fmac_f64_e32 v[162:163], v[154:155], v[156:157]
	global_load_dwordx4 v[156:159], v[138:139], off offset:2304
	ds_read_b128 v[152:155], v144 offset:6400
	ds_write_b128 v144, v[160:163] offset:5120
	s_waitcnt vmcnt(0) lgkmcnt(1)
	v_mul_f64 v[160:161], v[154:155], v[158:159]
	v_mul_f64 v[162:163], v[152:153], v[158:159]
	v_fma_f64 v[160:161], v[152:153], v[156:157], -v[160:161]
	v_fmac_f64_e32 v[162:163], v[154:155], v[156:157]
	global_load_dwordx4 v[156:159], v[138:139], off offset:3584
	ds_read_b128 v[152:155], v144 offset:7680
	ds_write_b128 v144, v[160:163] offset:6400
	s_waitcnt vmcnt(0) lgkmcnt(1)
	v_mul_f64 v[138:139], v[154:155], v[158:159]
	v_fma_f64 v[160:161], v[152:153], v[156:157], -v[138:139]
	v_add_co_u32_e64 v138, s[2:3], s2, v136
	v_mul_f64 v[162:163], v[152:153], v[158:159]
	s_nop 0
	v_addc_co_u32_e64 v139, s[2:3], 0, v137, s[2:3]
	v_fmac_f64_e32 v[162:163], v[154:155], v[156:157]
	global_load_dwordx4 v[156:159], v[138:139], off offset:768
	ds_read_b128 v[152:155], v144 offset:8960
	ds_write_b128 v144, v[160:163] offset:7680
	s_movk_i32 s2, 0x3000
	s_waitcnt vmcnt(0) lgkmcnt(1)
	v_mul_f64 v[160:161], v[154:155], v[158:159]
	v_mul_f64 v[162:163], v[152:153], v[158:159]
	v_fma_f64 v[160:161], v[152:153], v[156:157], -v[160:161]
	v_fmac_f64_e32 v[162:163], v[154:155], v[156:157]
	global_load_dwordx4 v[156:159], v145, s[14:15]
	ds_read_b128 v[152:155], v144 offset:10240
	ds_write_b128 v144, v[160:163] offset:8960
	s_waitcnt vmcnt(0) lgkmcnt(1)
	v_mul_f64 v[160:161], v[154:155], v[158:159]
	v_mul_f64 v[162:163], v[152:153], v[158:159]
	v_fma_f64 v[160:161], v[152:153], v[156:157], -v[160:161]
	v_fmac_f64_e32 v[162:163], v[154:155], v[156:157]
	global_load_dwordx4 v[156:159], v[138:139], off offset:3328
	ds_read_b128 v[152:155], v144 offset:11520
	ds_write_b128 v144, v[160:163] offset:10240
	s_waitcnt vmcnt(0) lgkmcnt(1)
	v_mul_f64 v[138:139], v[154:155], v[158:159]
	v_mul_f64 v[162:163], v[152:153], v[158:159]
	v_fma_f64 v[160:161], v[152:153], v[156:157], -v[138:139]
	v_fmac_f64_e32 v[162:163], v[154:155], v[156:157]
	ds_write_b128 v144, v[160:163] offset:11520
	v_add_co_u32_e64 v160, s[2:3], s2, v136
	ds_read_b128 v[152:155], v144 offset:12800
	s_nop 0
	v_addc_co_u32_e64 v161, s[2:3], 0, v137, s[2:3]
	global_load_dwordx4 v[136:139], v[160:161], off offset:512
	s_waitcnt vmcnt(0) lgkmcnt(0)
	v_mul_f64 v[156:157], v[154:155], v[138:139]
	v_mul_f64 v[158:159], v[152:153], v[138:139]
	v_fma_f64 v[156:157], v[152:153], v[136:137], -v[156:157]
	v_fmac_f64_e32 v[158:159], v[154:155], v[136:137]
	global_load_dwordx4 v[152:155], v[160:161], off offset:1792
	ds_read_b128 v[136:139], v144 offset:14080
	ds_write_b128 v144, v[156:159] offset:12800
	s_waitcnt vmcnt(0) lgkmcnt(1)
	v_mul_f64 v[156:157], v[138:139], v[154:155]
	v_mul_f64 v[158:159], v[136:137], v[154:155]
	v_fma_f64 v[156:157], v[136:137], v[152:153], -v[156:157]
	v_fmac_f64_e32 v[158:159], v[138:139], v[152:153]
	global_load_dwordx4 v[152:155], v[160:161], off offset:3072
	ds_read_b128 v[136:139], v144 offset:15360
	ds_write_b128 v144, v[156:159] offset:14080
	s_waitcnt vmcnt(0) lgkmcnt(1)
	v_mul_f64 v[156:157], v[138:139], v[154:155]
	v_mul_f64 v[158:159], v[136:137], v[154:155]
	v_fma_f64 v[156:157], v[136:137], v[152:153], -v[156:157]
	v_fmac_f64_e32 v[158:159], v[138:139], v[152:153]
	ds_write_b128 v144, v[156:159] offset:15360
.LBB0_13:
	s_or_b64 exec, exec, s[10:11]
	s_waitcnt lgkmcnt(0)
	s_barrier
	s_and_saveexec_b64 s[2:3], vcc
	s_cbranch_execz .LBB0_15
; %bb.14:
	ds_read_b128 v[128:131], v144
	ds_read_b128 v[140:143], v144 offset:1280
	ds_read_b128 v[132:135], v144 offset:2560
	;; [unrolled: 1-line block ×12, first 2 shown]
.LBB0_15:
	s_or_b64 exec, exec, s[2:3]
	s_waitcnt lgkmcnt(11)
	v_add_f64 v[136:137], v[128:129], v[140:141]
	v_add_f64 v[138:139], v[130:131], v[142:143]
	s_waitcnt lgkmcnt(10)
	v_add_f64 v[136:137], v[132:133], v[136:137]
	v_add_f64 v[138:139], v[134:135], v[138:139]
	;; [unrolled: 3-line block ×10, first 2 shown]
	s_mov_b32 s14, 0xe00740e9
	s_mov_b32 s18, 0x1ea71119
	;; [unrolled: 1-line block ×6, first 2 shown]
	s_waitcnt lgkmcnt(1)
	v_add_f64 v[136:137], v[112:113], v[136:137]
	v_add_f64 v[138:139], v[114:115], v[138:139]
	s_waitcnt lgkmcnt(0)
	v_add_f64 v[154:155], v[126:127], v[142:143]
	s_mov_b32 s2, 0x4267c47c
	s_mov_b32 s15, 0x3fec55a7
	;; [unrolled: 1-line block ×12, first 2 shown]
	v_add_f64 v[136:137], v[124:125], v[136:137]
	v_add_f64 v[138:139], v[126:127], v[138:139]
	;; [unrolled: 1-line block ×3, first 2 shown]
	v_add_f64 v[124:125], v[140:141], -v[124:125]
	v_add_f64 v[126:127], v[142:143], -v[126:127]
	s_mov_b32 s3, 0xbfddbe06
	v_mul_f64 v[156:157], v[154:155], s[14:15]
	s_mov_b32 s23, 0x3fddbe06
	s_mov_b32 s22, s2
	s_mov_b32 s11, 0xbfea55e2
	v_mul_f64 v[164:165], v[154:155], s[18:19]
	s_mov_b32 s25, 0x3fea55e2
	s_mov_b32 s24, s10
	;; [unrolled: 4-line block ×6, first 2 shown]
	v_mul_f64 v[140:141], v[126:127], s[2:3]
	v_fma_f64 v[158:159], s[22:23], v[124:125], v[156:157]
	v_fmac_f64_e32 v[156:157], s[2:3], v[124:125]
	v_mul_f64 v[160:161], v[126:127], s[10:11]
	v_fma_f64 v[166:167], s[24:25], v[124:125], v[164:165]
	v_fmac_f64_e32 v[164:165], s[10:11], v[124:125]
	;; [unrolled: 3-line block ×6, first 2 shown]
	v_fma_f64 v[142:143], s[14:15], v[152:153], v[140:141]
	v_add_f64 v[158:159], v[130:131], v[158:159]
	v_fma_f64 v[140:141], v[152:153], s[14:15], -v[140:141]
	v_add_f64 v[156:157], v[130:131], v[156:157]
	v_fma_f64 v[162:163], s[18:19], v[152:153], v[160:161]
	v_add_f64 v[166:167], v[130:131], v[166:167]
	v_fma_f64 v[160:161], v[152:153], s[18:19], -v[160:161]
	v_add_f64 v[164:165], v[130:131], v[164:165]
	;; [unrolled: 4-line block ×6, first 2 shown]
	v_add_f64 v[130:131], v[114:115], v[134:135]
	v_add_f64 v[114:115], v[134:135], -v[114:115]
	v_add_f64 v[142:143], v[128:129], v[142:143]
	v_add_f64 v[140:141], v[128:129], v[140:141]
	;; [unrolled: 1-line block ×13, first 2 shown]
	v_add_f64 v[112:113], v[132:133], -v[112:113]
	v_mul_f64 v[132:133], v[114:115], s[10:11]
	v_fma_f64 v[134:135], s[18:19], v[128:129], v[132:133]
	v_add_f64 v[134:135], v[134:135], v[142:143]
	v_mul_f64 v[142:143], v[130:131], s[18:19]
	v_fma_f64 v[152:153], s[24:25], v[112:113], v[142:143]
	v_fma_f64 v[132:133], v[128:129], s[18:19], -v[132:133]
	v_fmac_f64_e32 v[142:143], s[10:11], v[112:113]
	v_add_f64 v[132:133], v[132:133], v[140:141]
	v_add_f64 v[140:141], v[142:143], v[156:157]
	v_mul_f64 v[142:143], v[114:115], s[28:29]
	v_fma_f64 v[154:155], s[30:31], v[128:129], v[142:143]
	v_fma_f64 v[142:143], v[128:129], s[30:31], -v[142:143]
	v_mul_f64 v[156:157], v[130:131], s[30:31]
	v_add_f64 v[142:143], v[142:143], v[160:161]
	v_mul_f64 v[160:161], v[114:115], s[42:43]
	v_add_f64 v[152:153], v[152:153], v[158:159]
	v_add_f64 v[154:155], v[154:155], v[162:163]
	v_fma_f64 v[158:159], s[34:35], v[112:113], v[156:157]
	v_fmac_f64_e32 v[156:157], s[28:29], v[112:113]
	v_fma_f64 v[162:163], s[44:45], v[128:129], v[160:161]
	v_fma_f64 v[160:161], v[128:129], s[44:45], -v[160:161]
	v_add_f64 v[156:157], v[156:157], v[164:165]
	v_mul_f64 v[164:165], v[130:131], s[44:45]
	v_add_f64 v[160:161], v[160:161], v[168:169]
	v_mul_f64 v[168:169], v[114:115], s[40:41]
	v_add_f64 v[158:159], v[158:159], v[166:167]
	v_add_f64 v[162:163], v[162:163], v[170:171]
	v_fma_f64 v[166:167], s[46:47], v[112:113], v[164:165]
	v_fmac_f64_e32 v[164:165], s[42:43], v[112:113]
	v_fma_f64 v[170:171], s[38:39], v[128:129], v[168:169]
	v_fma_f64 v[168:169], v[128:129], s[38:39], -v[168:169]
	v_add_f64 v[164:165], v[164:165], v[172:173]
	v_mul_f64 v[172:173], v[130:131], s[38:39]
	v_add_f64 v[168:169], v[168:169], v[176:177]
	v_mul_f64 v[176:177], v[114:115], s[26:27]
	v_add_f64 v[166:167], v[166:167], v[174:175]
	v_add_f64 v[170:171], v[170:171], v[178:179]
	v_fma_f64 v[174:175], s[36:37], v[112:113], v[172:173]
	v_fmac_f64_e32 v[172:173], s[40:41], v[112:113]
	v_fma_f64 v[178:179], s[20:21], v[128:129], v[176:177]
	v_fma_f64 v[176:177], v[128:129], s[20:21], -v[176:177]
	v_mul_f64 v[114:115], v[114:115], s[22:23]
	v_add_f64 v[172:173], v[172:173], v[180:181]
	v_mul_f64 v[180:181], v[130:131], s[20:21]
	v_add_f64 v[176:177], v[176:177], v[184:185]
	v_fma_f64 v[184:185], s[14:15], v[128:129], v[114:115]
	v_mul_f64 v[130:131], v[130:131], s[14:15]
	v_fma_f64 v[114:115], v[128:129], s[14:15], -v[114:115]
	v_add_f64 v[178:179], v[178:179], v[186:187]
	v_fma_f64 v[186:187], s[2:3], v[112:113], v[130:131]
	v_add_f64 v[114:115], v[114:115], v[126:127]
	v_fmac_f64_e32 v[130:131], s[22:23], v[112:113]
	v_add_f64 v[126:127], v[110:111], v[118:119]
	v_add_f64 v[110:111], v[118:119], -v[110:111]
	v_add_f64 v[174:175], v[174:175], v[182:183]
	v_fma_f64 v[182:183], s[16:17], v[112:113], v[180:181]
	v_fmac_f64_e32 v[180:181], s[26:27], v[112:113]
	v_add_f64 v[112:113], v[130:131], v[124:125]
	v_add_f64 v[124:125], v[108:109], v[116:117]
	v_add_f64 v[108:109], v[116:117], -v[108:109]
	v_mul_f64 v[116:117], v[110:111], s[16:17]
	v_fma_f64 v[118:119], s[20:21], v[124:125], v[116:117]
	v_fma_f64 v[116:117], v[124:125], s[20:21], -v[116:117]
	v_mul_f64 v[128:129], v[126:127], s[20:21]
	v_add_f64 v[116:117], v[116:117], v[132:133]
	v_mul_f64 v[132:133], v[110:111], s[42:43]
	v_add_f64 v[118:119], v[118:119], v[134:135]
	v_fma_f64 v[130:131], s[26:27], v[108:109], v[128:129]
	v_fmac_f64_e32 v[128:129], s[16:17], v[108:109]
	v_fma_f64 v[134:135], s[44:45], v[124:125], v[132:133]
	v_fma_f64 v[132:133], v[124:125], s[44:45], -v[132:133]
	v_add_f64 v[128:129], v[128:129], v[140:141]
	v_mul_f64 v[140:141], v[126:127], s[44:45]
	v_add_f64 v[132:133], v[132:133], v[142:143]
	v_mul_f64 v[142:143], v[110:111], s[34:35]
	v_add_f64 v[130:131], v[130:131], v[152:153]
	v_add_f64 v[134:135], v[134:135], v[154:155]
	v_fma_f64 v[152:153], s[46:47], v[108:109], v[140:141]
	v_fmac_f64_e32 v[140:141], s[42:43], v[108:109]
	v_fma_f64 v[154:155], s[30:31], v[124:125], v[142:143]
	v_fma_f64 v[142:143], v[124:125], s[30:31], -v[142:143]
	v_add_f64 v[140:141], v[140:141], v[156:157]
	v_mul_f64 v[156:157], v[126:127], s[30:31]
	v_add_f64 v[142:143], v[142:143], v[160:161]
	v_mul_f64 v[160:161], v[110:111], s[22:23]
	v_add_f64 v[152:153], v[152:153], v[158:159]
	;; [unrolled: 10-line block ×3, first 2 shown]
	v_add_f64 v[162:163], v[162:163], v[170:171]
	v_fma_f64 v[166:167], s[2:3], v[108:109], v[164:165]
	v_fmac_f64_e32 v[164:165], s[22:23], v[108:109]
	v_fma_f64 v[170:171], s[18:19], v[124:125], v[168:169]
	v_fma_f64 v[168:169], v[124:125], s[18:19], -v[168:169]
	v_mul_f64 v[110:111], v[110:111], s[36:37]
	v_add_f64 v[164:165], v[164:165], v[172:173]
	v_mul_f64 v[172:173], v[126:127], s[18:19]
	v_add_f64 v[168:169], v[168:169], v[176:177]
	v_fma_f64 v[176:177], s[38:39], v[124:125], v[110:111]
	v_mul_f64 v[126:127], v[126:127], s[38:39]
	v_fma_f64 v[110:111], v[124:125], s[38:39], -v[110:111]
	v_add_f64 v[170:171], v[170:171], v[178:179]
	v_fma_f64 v[178:179], s[40:41], v[108:109], v[126:127]
	v_add_f64 v[110:111], v[110:111], v[114:115]
	v_fmac_f64_e32 v[126:127], s[36:37], v[108:109]
	v_add_f64 v[114:115], v[106:107], v[122:123]
	v_add_f64 v[106:107], v[122:123], -v[106:107]
	v_add_f64 v[166:167], v[166:167], v[174:175]
	v_fma_f64 v[174:175], s[24:25], v[108:109], v[172:173]
	v_fmac_f64_e32 v[172:173], s[10:11], v[108:109]
	v_add_f64 v[108:109], v[126:127], v[112:113]
	v_add_f64 v[112:113], v[104:105], v[120:121]
	v_add_f64 v[104:105], v[120:121], -v[104:105]
	v_mul_f64 v[120:121], v[106:107], s[28:29]
	v_fma_f64 v[122:123], s[30:31], v[112:113], v[120:121]
	v_add_f64 v[118:119], v[122:123], v[118:119]
	v_mul_f64 v[122:123], v[114:115], s[30:31]
	v_fma_f64 v[124:125], s[34:35], v[104:105], v[122:123]
	v_fma_f64 v[120:121], v[112:113], s[30:31], -v[120:121]
	v_fmac_f64_e32 v[122:123], s[28:29], v[104:105]
	v_add_f64 v[116:117], v[120:121], v[116:117]
	v_add_f64 v[120:121], v[122:123], v[128:129]
	v_mul_f64 v[122:123], v[106:107], s[40:41]
	v_fma_f64 v[126:127], s[38:39], v[112:113], v[122:123]
	v_fma_f64 v[122:123], v[112:113], s[38:39], -v[122:123]
	v_mul_f64 v[128:129], v[114:115], s[38:39]
	v_add_f64 v[122:123], v[122:123], v[132:133]
	v_mul_f64 v[132:133], v[106:107], s[22:23]
	v_add_f64 v[124:125], v[124:125], v[130:131]
	v_add_f64 v[126:127], v[126:127], v[134:135]
	v_fma_f64 v[130:131], s[36:37], v[104:105], v[128:129]
	v_fmac_f64_e32 v[128:129], s[40:41], v[104:105]
	v_fma_f64 v[134:135], s[14:15], v[112:113], v[132:133]
	v_fma_f64 v[132:133], v[112:113], s[14:15], -v[132:133]
	v_add_f64 v[128:129], v[128:129], v[140:141]
	v_mul_f64 v[140:141], v[114:115], s[14:15]
	v_add_f64 v[132:133], v[132:133], v[142:143]
	v_mul_f64 v[142:143], v[106:107], s[16:17]
	v_add_f64 v[130:131], v[130:131], v[152:153]
	v_add_f64 v[134:135], v[134:135], v[154:155]
	v_fma_f64 v[152:153], s[2:3], v[104:105], v[140:141]
	v_fmac_f64_e32 v[140:141], s[22:23], v[104:105]
	v_fma_f64 v[154:155], s[20:21], v[112:113], v[142:143]
	v_fma_f64 v[142:143], v[112:113], s[20:21], -v[142:143]
	v_add_f64 v[140:141], v[140:141], v[156:157]
	v_mul_f64 v[156:157], v[114:115], s[20:21]
	v_add_f64 v[142:143], v[142:143], v[160:161]
	v_mul_f64 v[160:161], v[106:107], s[46:47]
	v_add_f64 v[152:153], v[152:153], v[158:159]
	v_add_f64 v[154:155], v[154:155], v[162:163]
	v_fma_f64 v[158:159], s[26:27], v[104:105], v[156:157]
	v_fmac_f64_e32 v[156:157], s[16:17], v[104:105]
	v_fma_f64 v[162:163], s[44:45], v[112:113], v[160:161]
	v_fma_f64 v[160:161], v[112:113], s[44:45], -v[160:161]
	v_mul_f64 v[106:107], v[106:107], s[24:25]
	v_add_f64 v[156:157], v[156:157], v[164:165]
	v_mul_f64 v[164:165], v[114:115], s[44:45]
	v_add_f64 v[160:161], v[160:161], v[168:169]
	v_fma_f64 v[168:169], s[18:19], v[112:113], v[106:107]
	v_mul_f64 v[114:115], v[114:115], s[18:19]
	v_fma_f64 v[106:107], v[112:113], s[18:19], -v[106:107]
	v_add_f64 v[162:163], v[162:163], v[170:171]
	v_fma_f64 v[170:171], s[10:11], v[104:105], v[114:115]
	v_add_f64 v[106:107], v[106:107], v[110:111]
	v_fmac_f64_e32 v[114:115], s[24:25], v[104:105]
	v_add_f64 v[110:111], v[98:99], v[102:103]
	v_add_f64 v[98:99], v[102:103], -v[98:99]
	v_add_f64 v[158:159], v[158:159], v[166:167]
	v_fma_f64 v[166:167], s[42:43], v[104:105], v[164:165]
	v_fmac_f64_e32 v[164:165], s[46:47], v[104:105]
	v_add_f64 v[104:105], v[114:115], v[108:109]
	v_add_f64 v[108:109], v[96:97], v[100:101]
	v_add_f64 v[96:97], v[100:101], -v[96:97]
	v_mul_f64 v[100:101], v[98:99], s[36:37]
	v_mul_f64 v[112:113], v[110:111], s[38:39]
	v_fma_f64 v[102:103], s[38:39], v[108:109], v[100:101]
	v_fma_f64 v[114:115], s[40:41], v[96:97], v[112:113]
	v_fma_f64 v[100:101], v[108:109], s[38:39], -v[100:101]
	v_fmac_f64_e32 v[112:113], s[36:37], v[96:97]
	v_add_f64 v[100:101], v[100:101], v[116:117]
	v_add_f64 v[116:117], v[112:113], v[120:121]
	v_mul_f64 v[112:113], v[98:99], s[26:27]
	v_add_f64 v[102:103], v[102:103], v[118:119]
	v_fma_f64 v[118:119], s[20:21], v[108:109], v[112:113]
	v_mul_f64 v[120:121], v[110:111], s[20:21]
	v_fma_f64 v[112:113], v[108:109], s[20:21], -v[112:113]
	v_add_f64 v[114:115], v[114:115], v[124:125]
	v_fma_f64 v[124:125], s[16:17], v[96:97], v[120:121]
	v_add_f64 v[122:123], v[112:113], v[122:123]
	v_fmac_f64_e32 v[120:121], s[26:27], v[96:97]
	v_mul_f64 v[112:113], v[98:99], s[10:11]
	v_add_f64 v[118:119], v[118:119], v[126:127]
	v_add_f64 v[126:127], v[120:121], v[128:129]
	v_fma_f64 v[120:121], s[18:19], v[108:109], v[112:113]
	v_add_f64 v[128:129], v[120:121], v[134:135]
	v_mul_f64 v[120:121], v[110:111], s[18:19]
	v_fma_f64 v[112:113], v[108:109], s[18:19], -v[112:113]
	v_add_f64 v[124:125], v[124:125], v[130:131]
	v_fma_f64 v[130:131], s[24:25], v[96:97], v[120:121]
	v_add_f64 v[132:133], v[112:113], v[132:133]
	v_fmac_f64_e32 v[120:121], s[10:11], v[96:97]
	v_mul_f64 v[112:113], v[98:99], s[46:47]
	v_add_f64 v[134:135], v[120:121], v[140:141]
	v_fma_f64 v[120:121], s[44:45], v[108:109], v[112:113]
	v_add_f64 v[140:141], v[120:121], v[154:155]
	v_mul_f64 v[120:121], v[110:111], s[44:45]
	v_fma_f64 v[112:113], v[108:109], s[44:45], -v[112:113]
	v_add_f64 v[186:187], v[186:187], v[194:195]
	v_add_f64 v[130:131], v[130:131], v[152:153]
	v_fma_f64 v[152:153], s[42:43], v[96:97], v[120:121]
	v_add_f64 v[142:143], v[112:113], v[142:143]
	v_fmac_f64_e32 v[120:121], s[46:47], v[96:97]
	v_mul_f64 v[112:113], v[98:99], s[22:23]
	v_add_f64 v[182:183], v[182:183], v[190:191]
	v_add_f64 v[180:181], v[180:181], v[188:189]
	v_add_f64 v[184:185], v[184:185], v[192:193]
	v_add_f64 v[178:179], v[178:179], v[186:187]
	v_add_f64 v[154:155], v[120:121], v[156:157]
	v_fma_f64 v[120:121], s[14:15], v[108:109], v[112:113]
	v_add_f64 v[174:175], v[174:175], v[182:183]
	v_add_f64 v[172:173], v[172:173], v[180:181]
	;; [unrolled: 1-line block ×5, first 2 shown]
	v_mul_f64 v[120:121], v[110:111], s[14:15]
	v_fma_f64 v[112:113], v[108:109], s[14:15], -v[112:113]
	v_mul_f64 v[98:99], v[98:99], s[28:29]
	v_add_f64 v[178:179], v[90:91], -v[94:95]
	v_add_f64 v[166:167], v[166:167], v[174:175]
	v_add_f64 v[164:165], v[164:165], v[172:173]
	;; [unrolled: 1-line block ×4, first 2 shown]
	v_fma_f64 v[158:159], s[2:3], v[96:97], v[120:121]
	v_add_f64 v[160:161], v[112:113], v[160:161]
	v_fmac_f64_e32 v[120:121], s[22:23], v[96:97]
	v_fma_f64 v[112:113], s[30:31], v[108:109], v[98:99]
	v_mul_f64 v[110:111], v[110:111], s[30:31]
	v_add_f64 v[172:173], v[88:89], v[92:93]
	v_add_f64 v[174:175], v[90:91], v[94:95]
	v_add_f64 v[176:177], v[88:89], -v[92:93]
	v_mul_f64 v[92:93], v[178:179], s[42:43]
	v_add_f64 v[162:163], v[120:121], v[164:165]
	v_add_f64 v[164:165], v[112:113], v[168:169]
	v_fma_f64 v[112:113], s[34:35], v[96:97], v[110:111]
	v_fma_f64 v[88:89], s[44:45], v[172:173], v[92:93]
	v_mul_f64 v[94:95], v[174:175], s[44:45]
	v_fma_f64 v[92:93], v[172:173], s[44:45], -v[92:93]
	v_add_f64 v[158:159], v[158:159], v[166:167]
	v_add_f64 v[166:167], v[112:113], v[170:171]
	v_fma_f64 v[90:91], s[46:47], v[176:177], v[94:95]
	v_add_f64 v[112:113], v[92:93], v[100:101]
	v_fmac_f64_e32 v[94:95], s[42:43], v[176:177]
	v_mul_f64 v[92:93], v[178:179], s[22:23]
	v_add_f64 v[90:91], v[90:91], v[114:115]
	v_add_f64 v[114:115], v[94:95], v[116:117]
	v_fma_f64 v[94:95], s[14:15], v[172:173], v[92:93]
	v_add_f64 v[100:101], v[94:95], v[118:119]
	v_mul_f64 v[94:95], v[174:175], s[14:15]
	v_fma_f64 v[92:93], v[172:173], s[14:15], -v[92:93]
	v_fmac_f64_e32 v[110:111], s[28:29], v[96:97]
	v_fma_f64 v[96:97], s[2:3], v[176:177], v[94:95]
	v_add_f64 v[120:121], v[92:93], v[122:123]
	v_fmac_f64_e32 v[94:95], s[22:23], v[176:177]
	v_mul_f64 v[92:93], v[178:179], s[36:37]
	v_add_f64 v[122:123], v[94:95], v[126:127]
	v_fma_f64 v[94:95], s[38:39], v[172:173], v[92:93]
	v_fma_f64 v[98:99], v[108:109], s[30:31], -v[98:99]
	v_add_f64 v[88:89], v[88:89], v[102:103]
	v_add_f64 v[102:103], v[96:97], v[124:125]
	;; [unrolled: 1-line block ×3, first 2 shown]
	v_mul_f64 v[94:95], v[174:175], s[38:39]
	v_mul_f64 v[124:125], v[178:179], s[26:27]
	v_add_f64 v[168:169], v[98:99], v[106:107]
	v_add_f64 v[170:171], v[110:111], v[104:105]
	v_fma_f64 v[98:99], s[40:41], v[176:177], v[94:95]
	v_fma_f64 v[92:93], v[172:173], s[38:39], -v[92:93]
	v_fmac_f64_e32 v[94:95], s[36:37], v[176:177]
	v_mul_f64 v[104:105], v[178:179], s[24:25]
	v_mul_f64 v[106:107], v[174:175], s[18:19]
	v_fma_f64 v[126:127], s[20:21], v[172:173], v[124:125]
	v_add_f64 v[132:133], v[92:93], v[132:133]
	v_add_f64 v[134:135], v[94:95], v[134:135]
	v_fma_f64 v[92:93], s[18:19], v[172:173], v[104:105]
	v_fma_f64 v[94:95], s[10:11], v[176:177], v[106:107]
	v_fma_f64 v[104:105], v[172:173], s[18:19], -v[104:105]
	v_fmac_f64_e32 v[106:107], s[24:25], v[176:177]
	v_mul_f64 v[108:109], v[178:179], s[28:29]
	v_mul_f64 v[110:111], v[174:175], s[30:31]
	v_add_f64 v[128:129], v[126:127], v[164:165]
	v_mul_f64 v[126:127], v[174:175], s[20:21]
	v_add_f64 v[98:99], v[98:99], v[130:131]
	v_add_f64 v[116:117], v[104:105], v[142:143]
	;; [unrolled: 1-line block ×3, first 2 shown]
	v_fma_f64 v[104:105], s[30:31], v[172:173], v[108:109]
	v_fma_f64 v[106:107], s[34:35], v[176:177], v[110:111]
	v_fma_f64 v[108:109], v[172:173], s[30:31], -v[108:109]
	v_fmac_f64_e32 v[110:111], s[28:29], v[176:177]
	v_fma_f64 v[130:131], s[16:17], v[176:177], v[126:127]
	v_fma_f64 v[124:125], v[172:173], s[20:21], -v[124:125]
	v_fmac_f64_e32 v[126:127], s[26:27], v[176:177]
	v_add_f64 v[92:93], v[92:93], v[140:141]
	v_add_f64 v[94:95], v[94:95], v[152:153]
	;; [unrolled: 1-line block ×9, first 2 shown]
	s_barrier
	s_and_saveexec_b64 s[2:3], vcc
	s_cbranch_execz .LBB0_17
; %bb.16:
	v_lshlrev_b32_e32 v140, 4, v150
	ds_write_b128 v140, v[136:139]
	ds_write_b128 v140, v[88:91] offset:16
	ds_write_b128 v140, v[100:103] offset:32
	;; [unrolled: 1-line block ×12, first 2 shown]
.LBB0_17:
	s_or_b64 exec, exec, s[2:3]
	s_waitcnt lgkmcnt(0)
	s_barrier
	s_and_saveexec_b64 s[2:3], s[0:1]
	s_cbranch_execz .LBB0_19
; %bb.18:
	ds_read_b128 v[136:139], v144
	ds_read_b128 v[88:91], v144 offset:1040
	ds_read_b128 v[100:103], v144 offset:2080
	;; [unrolled: 1-line block ×15, first 2 shown]
.LBB0_19:
	s_or_b64 exec, exec, s[2:3]
	s_waitcnt lgkmcnt(0)
	s_barrier
	s_and_saveexec_b64 s[2:3], s[0:1]
	s_cbranch_execz .LBB0_21
; %bb.20:
	v_mul_f64 v[158:159], v[2:3], v[94:95]
	v_mul_f64 v[2:3], v[2:3], v[92:93]
	;; [unrolled: 1-line block ×4, first 2 shown]
	v_fmac_f64_e32 v[158:159], v[0:1], v[92:93]
	v_mul_f64 v[22:23], v[22:23], v[102:103]
	v_fma_f64 v[0:1], v[0:1], v[94:95], -v[2:3]
	v_mul_f64 v[2:3], v[30:31], v[112:113]
	v_fma_f64 v[140:141], v[20:21], v[102:103], -v[140:141]
	v_mul_f64 v[142:143], v[46:47], v[132:133]
	v_fmac_f64_e32 v[150:151], v[36:37], v[128:129]
	v_mul_f64 v[152:153], v[58:59], v[86:87]
	v_mul_f64 v[160:161], v[30:31], v[114:115]
	;; [unrolled: 1-line block ×3, first 2 shown]
	v_fmac_f64_e32 v[22:23], v[20:21], v[100:101]
	v_mul_f64 v[20:21], v[46:47], v[134:135]
	v_mul_f64 v[46:47], v[10:11], v[96:97]
	v_mul_f64 v[128:129], v[18:19], v[106:107]
	v_mul_f64 v[10:11], v[10:11], v[98:99]
	v_mul_f64 v[18:19], v[18:19], v[104:105]
	v_fma_f64 v[2:3], v[28:29], v[114:115], -v[2:3]
	v_fmac_f64_e32 v[152:153], v[56:57], v[84:85]
	v_fmac_f64_e32 v[160:161], v[28:29], v[112:113]
	v_fma_f64 v[36:37], v[36:37], v[130:131], -v[38:39]
	v_mul_f64 v[38:39], v[58:59], v[84:85]
	v_fma_f64 v[46:47], v[8:9], v[98:99], -v[46:47]
	v_mul_f64 v[58:59], v[26:27], v[126:127]
	v_mul_f64 v[84:85], v[54:55], v[82:83]
	v_fmac_f64_e32 v[128:129], v[16:17], v[104:105]
	v_mul_f64 v[130:131], v[50:51], v[78:79]
	v_mul_f64 v[26:27], v[26:27], v[124:125]
	v_fmac_f64_e32 v[10:11], v[8:9], v[96:97]
	v_mul_f64 v[8:9], v[42:43], v[122:123]
	v_fma_f64 v[16:17], v[16:17], v[106:107], -v[18:19]
	v_mul_f64 v[18:19], v[50:51], v[76:77]
	v_add_f64 v[28:29], v[0:1], -v[2:3]
	v_mul_f64 v[2:3], v[14:15], v[110:111]
	v_fma_f64 v[38:39], v[56:57], v[86:87], -v[38:39]
	v_mul_f64 v[56:57], v[42:43], v[120:121]
	v_fmac_f64_e32 v[58:59], v[24:25], v[124:125]
	v_fmac_f64_e32 v[84:85], v[52:53], v[80:81]
	v_mul_f64 v[100:101], v[6:7], v[88:89]
	v_fmac_f64_e32 v[130:131], v[48:49], v[76:77]
	v_fma_f64 v[24:25], v[24:25], v[126:127], -v[26:27]
	v_mul_f64 v[26:27], v[54:55], v[80:81]
	v_fmac_f64_e32 v[8:9], v[40:41], v[120:121]
	v_fma_f64 v[18:19], v[48:49], v[78:79], -v[18:19]
	;; [unrolled: 3-line block ×3, first 2 shown]
	v_add_f64 v[84:85], v[58:59], -v[84:85]
	v_fma_f64 v[100:101], v[4:5], v[90:91], -v[100:101]
	v_fma_f64 v[26:27], v[52:53], v[82:83], -v[26:27]
	v_add_f64 v[40:41], v[10:11], -v[8:9]
	v_fmac_f64_e32 v[48:49], v[4:5], v[88:89]
	v_mul_f64 v[4:5], v[34:35], v[118:119]
	v_add_f64 v[30:31], v[136:137], -v[2:3]
	v_mul_f64 v[156:157], v[14:15], v[108:109]
	v_add_f64 v[56:57], v[46:47], -v[56:57]
	;; [unrolled: 2-line block ×3, first 2 shown]
	v_fmac_f64_e32 v[4:5], v[32:33], v[116:117]
	v_add_f64 v[52:53], v[30:31], v[28:29]
	v_fma_f64 v[0:1], v[0:1], 2.0, -v[28:29]
	v_fma_f64 v[28:29], v[10:11], 2.0, -v[40:41]
	;; [unrolled: 1-line block ×3, first 2 shown]
	v_fma_f64 v[142:143], v[44:45], v[134:135], -v[142:143]
	v_fma_f64 v[156:157], v[12:13], v[110:111], -v[156:157]
	;; [unrolled: 1-line block ×3, first 2 shown]
	v_add_f64 v[130:131], v[128:129], -v[130:131]
	v_add_f64 v[32:33], v[48:49], -v[4:5]
	;; [unrolled: 1-line block ×3, first 2 shown]
	v_fma_f64 v[46:47], v[46:47], 2.0, -v[56:57]
	v_fma_f64 v[10:11], v[24:25], 2.0, -v[26:27]
	v_add_f64 v[142:143], v[140:141], -v[142:143]
	v_add_f64 v[152:153], v[150:151], -v[152:153]
	;; [unrolled: 1-line block ×4, first 2 shown]
	s_mov_b32 s0, 0x667f3bcd
	v_add_f64 v[38:39], v[36:37], -v[38:39]
	v_fmac_f64_e32 v[20:21], v[44:45], v[132:133]
	v_add_f64 v[102:103], v[100:101], -v[102:103]
	v_add_f64 v[42:43], v[26:27], v[40:41]
	v_add_f64 v[26:27], v[46:47], -v[10:11]
	v_fma_f64 v[48:49], v[48:49], 2.0, -v[32:33]
	v_fma_f64 v[10:11], v[128:129], 2.0, -v[130:131]
	v_add_f64 v[154:155], v[142:143], -v[152:153]
	v_add_f64 v[162:163], v[156:157], -v[160:161]
	s_mov_b32 s1, 0x3fe6a09e
	v_add_f64 v[20:21], v[22:23], -v[20:21]
	v_add_f64 v[86:87], v[56:57], -v[84:85]
	;; [unrolled: 1-line block ×5, first 2 shown]
	v_fma_f64 v[96:97], v[140:141], 2.0, -v[142:143]
	v_fma_f64 v[10:11], v[36:37], 2.0, -v[38:39]
	v_fma_f64 v[164:165], s[0:1], v[154:155], v[162:163]
	v_add_f64 v[44:45], v[38:39], v[20:21]
	s_mov_b32 s11, 0xbfe6a09e
	s_mov_b32 s10, s0
	v_fma_f64 v[134:135], s[0:1], v[86:87], v[132:133]
	v_add_f64 v[34:35], v[18:19], v[32:33]
	v_add_f64 v[36:37], v[96:97], -v[10:11]
	v_fma_f64 v[38:39], v[136:137], 2.0, -v[30:31]
	v_fma_f64 v[10:11], v[158:159], 2.0, -v[160:161]
	v_fmac_f64_e32 v[164:165], s[10:11], v[44:45]
	v_fmac_f64_e32 v[134:135], s[10:11], v[42:43]
	v_fma_f64 v[50:51], s[0:1], v[42:43], v[34:35]
	s_mov_b32 s14, 0xa6aea964
	v_add_f64 v[98:99], v[38:39], -v[10:11]
	s_mov_b32 s16, 0xcf328d46
	v_fmac_f64_e32 v[50:51], s[0:1], v[86:87]
	s_mov_b32 s15, 0xbfd87de2
	v_fma_f64 v[78:79], v[22:23], 2.0, -v[20:21]
	v_fma_f64 v[12:13], v[150:151], 2.0, -v[152:153]
	;; [unrolled: 1-line block ×6, first 2 shown]
	s_mov_b32 s17, 0x3fed906b
	v_fma_f64 v[54:55], s[0:1], v[44:45], v[52:53]
	v_fma_f64 v[76:77], v[138:139], 2.0, -v[156:157]
	v_add_f64 v[80:81], v[78:79], -v[12:13]
	v_fma_f64 v[88:89], v[100:101], 2.0, -v[102:103]
	v_fma_f64 v[12:13], v[16:17], 2.0, -v[18:19]
	v_add_f64 v[100:101], v[98:99], v[36:37]
	v_fma_f64 v[102:103], v[102:103], 2.0, -v[132:133]
	v_fma_f64 v[24:25], v[56:57], 2.0, -v[86:87]
	;; [unrolled: 1-line block ×3, first 2 shown]
	s_mov_b32 s21, 0xbfed906b
	s_mov_b32 s20, s16
	v_fma_f64 v[110:111], v[30:31], 2.0, -v[52:53]
	v_fma_f64 v[30:31], v[96:97], 2.0, -v[36:37]
	v_fma_f64 v[36:37], s[14:15], v[42:43], v[38:39]
	v_fma_f64 v[34:35], v[34:35], 2.0, -v[50:51]
	v_fmac_f64_e32 v[54:55], s[0:1], v[154:155]
	v_add_f64 v[0:1], v[76:77], -v[0:1]
	v_add_f64 v[90:91], v[88:89], -v[12:13]
	v_fma_f64 v[56:57], s[10:11], v[24:25], v[102:103]
	v_fmac_f64_e32 v[36:37], s[20:21], v[34:35]
	v_add_f64 v[82:83], v[0:1], -v[80:81]
	v_add_f64 v[84:85], v[90:91], -v[58:59]
	v_fmac_f64_e32 v[56:57], s[10:11], v[40:41]
	v_fma_f64 v[108:109], s[10:11], v[40:41], v[86:87]
	v_fma_f64 v[40:41], v[38:39], 2.0, -v[36:37]
	v_fma_f64 v[38:39], v[52:53], 2.0, -v[54:55]
	v_add_f64 v[94:95], v[26:27], v[92:93]
	v_fma_f64 v[76:77], v[76:77], 2.0, -v[0:1]
	v_fma_f64 v[26:27], v[46:47], 2.0, -v[26:27]
	v_fma_f64 v[34:35], s[14:15], v[34:35], v[38:39]
	v_fma_f64 v[0:1], v[0:1], 2.0, -v[82:83]
	v_fma_f64 v[46:47], v[90:91], 2.0, -v[84:85]
	;; [unrolled: 1-line block ×3, first 2 shown]
	v_fmac_f64_e32 v[34:35], s[16:17], v[42:43]
	v_fma_f64 v[44:45], s[10:11], v[46:47], v[0:1]
	v_fma_f64 v[42:43], v[92:93], 2.0, -v[94:95]
	v_fmac_f64_e32 v[44:45], s[10:11], v[42:43]
	v_fma_f64 v[104:105], v[156:157], 2.0, -v[162:163]
	v_fma_f64 v[18:19], v[142:143], 2.0, -v[154:155]
	;; [unrolled: 1-line block ×5, first 2 shown]
	v_fma_f64 v[6:7], s[16:17], v[50:51], v[54:55]
	s_mov_b32 s19, 0x3fd87de2
	s_mov_b32 s18, s14
	v_fma_f64 v[106:107], s[10:11], v[18:19], v[104:105]
	v_fma_f64 v[42:43], s[10:11], v[42:43], v[0:1]
	v_fmac_f64_e32 v[6:7], s[18:19], v[134:135]
	v_fmac_f64_e32 v[106:107], s[10:11], v[22:23]
	;; [unrolled: 1-line block ×3, first 2 shown]
	v_fma_f64 v[8:9], s[16:17], v[134:135], v[164:165]
	v_fma_f64 v[2:3], v[54:55], 2.0, -v[6:7]
	v_fmac_f64_e32 v[108:109], s[0:1], v[24:25]
	v_fma_f64 v[112:113], s[10:11], v[22:23], v[110:111]
	v_fma_f64 v[46:47], v[0:1], 2.0, -v[42:43]
	v_fma_f64 v[0:1], v[104:105], 2.0, -v[106:107]
	;; [unrolled: 1-line block ×3, first 2 shown]
	v_fmac_f64_e32 v[8:9], s[14:15], v[50:51]
	v_fmac_f64_e32 v[112:113], s[0:1], v[18:19]
	v_fma_f64 v[52:53], s[20:21], v[54:55], v[0:1]
	v_fma_f64 v[50:51], v[86:87], 2.0, -v[108:109]
	v_fma_f64 v[18:19], s[18:19], v[108:109], v[112:113]
	v_fmac_f64_e32 v[52:53], s[14:15], v[50:51]
	v_fma_f64 v[20:21], s[18:19], v[56:57], v[106:107]
	v_fmac_f64_e32 v[18:19], s[16:17], v[56:57]
	v_fma_f64 v[56:57], v[0:1], 2.0, -v[52:53]
	v_fma_f64 v[0:1], v[110:111], 2.0, -v[112:113]
	v_add_f64 v[96:97], v[76:77], -v[30:31]
	v_fma_f64 v[30:31], v[78:79], 2.0, -v[80:81]
	v_fma_f64 v[78:79], v[88:89], 2.0, -v[90:91]
	v_fma_f64 v[50:51], s[20:21], v[50:51], v[0:1]
	v_add_f64 v[88:89], v[78:79], -v[26:27]
	v_fmac_f64_e32 v[50:51], s[18:19], v[54:55]
	v_fma_f64 v[12:13], s[0:1], v[84:85], v[82:83]
	v_fma_f64 v[28:29], v[28:29], 2.0, -v[58:59]
	v_fma_f64 v[54:55], v[0:1], 2.0, -v[50:51]
	;; [unrolled: 1-line block ×4, first 2 shown]
	v_fmac_f64_e32 v[12:13], s[10:11], v[94:95]
	v_add_f64 v[58:59], v[114:115], -v[28:29]
	v_add_f64 v[80:81], v[116:117], -v[30:31]
	;; [unrolled: 1-line block ×3, first 2 shown]
	v_fma_f64 v[16:17], v[82:83], 2.0, -v[12:13]
	v_add_f64 v[28:29], v[96:97], -v[58:59]
	v_fma_f64 v[82:83], v[0:1], 2.0, -v[78:79]
	v_fma_f64 v[0:1], v[116:117], 2.0, -v[80:81]
	;; [unrolled: 1-line block ×3, first 2 shown]
	v_add_f64 v[26:27], v[80:81], v[88:89]
	v_add_f64 v[76:77], v[0:1], -v[58:59]
	v_fma_f64 v[30:31], v[80:81], 2.0, -v[26:27]
	v_fma_f64 v[80:81], v[0:1], 2.0, -v[76:77]
	v_mul_u32_u24_e32 v0, 0xd0, v148
	v_fma_f64 v[10:11], s[0:1], v[94:95], v[100:101]
	v_or_b32_e32 v0, v0, v149
	v_fmac_f64_e32 v[10:11], s[0:1], v[84:85]
	v_fmac_f64_e32 v[20:21], s[20:21], v[108:109]
	v_lshlrev_b32_e32 v0, 4, v0
	v_fma_f64 v[4:5], v[164:165], 2.0, -v[8:9]
	v_fma_f64 v[14:15], v[100:101], 2.0, -v[10:11]
	;; [unrolled: 1-line block ×6, first 2 shown]
	ds_write_b128 v0, v[80:83]
	ds_write_b128 v0, v[54:57] offset:208
	ds_write_b128 v0, v[46:49] offset:416
	;; [unrolled: 1-line block ×15, first 2 shown]
.LBB0_21:
	s_or_b64 exec, exec, s[2:3]
	s_waitcnt lgkmcnt(0)
	s_barrier
	ds_read_b128 v[0:3], v144 offset:3328
	ds_read_b128 v[4:7], v144
	ds_read_b128 v[8:11], v144 offset:6656
	ds_read_b128 v[12:15], v144 offset:9984
	;; [unrolled: 1-line block ×3, first 2 shown]
	s_waitcnt lgkmcnt(4)
	v_mul_f64 v[20:21], v[74:75], v[2:3]
	v_fmac_f64_e32 v[20:21], v[72:73], v[0:1]
	v_mul_f64 v[0:1], v[74:75], v[0:1]
	v_fma_f64 v[22:23], v[72:73], v[2:3], -v[0:1]
	s_waitcnt lgkmcnt(2)
	v_mul_f64 v[0:1], v[70:71], v[8:9]
	v_mul_f64 v[24:25], v[70:71], v[10:11]
	v_fma_f64 v[26:27], v[68:69], v[10:11], -v[0:1]
	s_waitcnt lgkmcnt(1)
	v_mul_f64 v[28:29], v[66:67], v[14:15]
	v_mul_f64 v[0:1], v[66:67], v[12:13]
	v_fmac_f64_e32 v[24:25], v[68:69], v[8:9]
	v_fmac_f64_e32 v[28:29], v[64:65], v[12:13]
	v_fma_f64 v[30:31], v[64:65], v[14:15], -v[0:1]
	s_waitcnt lgkmcnt(0)
	v_mul_f64 v[0:1], v[62:63], v[16:17]
	v_mul_f64 v[14:15], v[62:63], v[18:19]
	v_fma_f64 v[32:33], v[60:61], v[18:19], -v[0:1]
	v_add_f64 v[2:3], v[24:25], v[28:29]
	s_mov_b32 s0, 0x134454ff
	v_fmac_f64_e32 v[14:15], v[60:61], v[16:17]
	v_fma_f64 v[8:9], -0.5, v[2:3], v[4:5]
	v_add_f64 v[2:3], v[22:23], -v[32:33]
	s_mov_b32 s1, 0xbfee6f0e
	s_mov_b32 s2, 0x4755a5e
	;; [unrolled: 1-line block ×4, first 2 shown]
	v_fma_f64 v[12:13], s[0:1], v[2:3], v[8:9]
	v_add_f64 v[10:11], v[26:27], -v[30:31]
	s_mov_b32 s3, 0xbfe2cf23
	v_add_f64 v[16:17], v[20:21], -v[24:25]
	v_add_f64 v[18:19], v[14:15], -v[28:29]
	s_mov_b32 s10, 0x372fe950
	v_fmac_f64_e32 v[8:9], s[14:15], v[2:3]
	s_mov_b32 s17, 0x3fe2cf23
	s_mov_b32 s16, s2
	v_fmac_f64_e32 v[12:13], s[2:3], v[10:11]
	v_add_f64 v[16:17], v[16:17], v[18:19]
	s_mov_b32 s11, 0x3fd3c6ef
	v_fmac_f64_e32 v[8:9], s[16:17], v[10:11]
	v_fmac_f64_e32 v[12:13], s[10:11], v[16:17]
	;; [unrolled: 1-line block ×3, first 2 shown]
	v_add_f64 v[16:17], v[20:21], v[14:15]
	v_add_f64 v[0:1], v[4:5], v[20:21]
	v_fmac_f64_e32 v[4:5], -0.5, v[16:17]
	v_add_f64 v[0:1], v[0:1], v[24:25]
	v_fma_f64 v[16:17], s[14:15], v[10:11], v[4:5]
	v_add_f64 v[18:19], v[24:25], -v[20:21]
	v_add_f64 v[34:35], v[28:29], -v[14:15]
	v_fmac_f64_e32 v[4:5], s[0:1], v[10:11]
	v_add_f64 v[10:11], v[26:27], v[30:31]
	v_add_f64 v[0:1], v[0:1], v[28:29]
	v_fmac_f64_e32 v[16:17], s[2:3], v[2:3]
	v_add_f64 v[18:19], v[18:19], v[34:35]
	v_fmac_f64_e32 v[4:5], s[16:17], v[2:3]
	v_fma_f64 v[10:11], -0.5, v[10:11], v[6:7]
	v_add_f64 v[20:21], v[20:21], -v[14:15]
	v_add_f64 v[0:1], v[0:1], v[14:15]
	v_fmac_f64_e32 v[16:17], s[10:11], v[18:19]
	v_fmac_f64_e32 v[4:5], s[10:11], v[18:19]
	v_fma_f64 v[14:15], s[14:15], v[20:21], v[10:11]
	v_add_f64 v[24:25], v[24:25], -v[28:29]
	v_add_f64 v[18:19], v[22:23], -v[26:27]
	;; [unrolled: 1-line block ×3, first 2 shown]
	v_fmac_f64_e32 v[10:11], s[0:1], v[20:21]
	v_fmac_f64_e32 v[14:15], s[16:17], v[24:25]
	v_add_f64 v[18:19], v[18:19], v[28:29]
	v_fmac_f64_e32 v[10:11], s[2:3], v[24:25]
	v_add_f64 v[2:3], v[6:7], v[22:23]
	v_fmac_f64_e32 v[14:15], s[10:11], v[18:19]
	v_fmac_f64_e32 v[10:11], s[10:11], v[18:19]
	v_add_f64 v[18:19], v[22:23], v[32:33]
	v_add_f64 v[2:3], v[2:3], v[26:27]
	v_fmac_f64_e32 v[6:7], -0.5, v[18:19]
	v_add_f64 v[2:3], v[2:3], v[30:31]
	v_fma_f64 v[18:19], s[0:1], v[24:25], v[6:7]
	v_add_f64 v[22:23], v[26:27], -v[22:23]
	v_add_f64 v[26:27], v[30:31], -v[32:33]
	v_fmac_f64_e32 v[6:7], s[14:15], v[24:25]
	v_add_f64 v[2:3], v[2:3], v[32:33]
	v_fmac_f64_e32 v[18:19], s[16:17], v[20:21]
	v_add_f64 v[22:23], v[22:23], v[26:27]
	v_fmac_f64_e32 v[6:7], s[2:3], v[20:21]
	v_fmac_f64_e32 v[18:19], s[10:11], v[22:23]
	;; [unrolled: 1-line block ×3, first 2 shown]
	ds_write_b128 v144, v[0:3]
	ds_write_b128 v144, v[12:15] offset:3328
	ds_write_b128 v144, v[16:19] offset:6656
	;; [unrolled: 1-line block ×4, first 2 shown]
	s_waitcnt lgkmcnt(0)
	s_barrier
	s_and_b64 exec, exec, vcc
	s_cbranch_execz .LBB0_23
; %bb.22:
	global_load_dwordx4 v[0:3], v144, s[8:9]
	global_load_dwordx4 v[4:7], v144, s[8:9] offset:1280
	global_load_dwordx4 v[8:11], v144, s[8:9] offset:2560
	;; [unrolled: 1-line block ×3, first 2 shown]
	v_mov_b32_e32 v145, 0
	s_movk_i32 s0, 0x1000
	v_lshl_add_u64 v[42:43], s[8:9], 0, v[144:145]
	v_add_co_u32_e32 v48, vcc, s0, v42
	v_mad_u64_u32 v[44:45], s[0:1], s6, v146, 0
	s_nop 0
	v_addc_co_u32_e32 v49, vcc, 0, v43, vcc
	global_load_dwordx4 v[16:19], v[48:49], off offset:1024
	ds_read_b128 v[28:31], v144
	ds_read_b128 v[24:27], v144 offset:1280
	global_load_dwordx4 v[20:23], v[48:49], off offset:2304
	v_mad_u64_u32 v[46:47], s[2:3], s4, v147, 0
	v_mov_b32_e32 v54, v45
	v_mov_b32_e32 v56, v47
	ds_read_b128 v[36:39], v144 offset:2560
	ds_read_b128 v[32:35], v144 offset:3840
	v_mad_u64_u32 v[58:59], s[6:7], s7, v146, v[54:55]
	v_mad_u64_u32 v[60:61], s[6:7], s5, v147, v[56:57]
	global_load_dwordx4 v[54:57], v[48:49], off offset:3584
	s_movk_i32 s3, 0x2000
	v_add_co_u32_e32 v48, vcc, s3, v42
	v_or_b32_e32 v79, 0x280, v147
	s_nop 0
	v_addc_co_u32_e32 v49, vcc, 0, v43, vcc
	ds_read_b128 v[50:53], v144 offset:15360
	v_lshlrev_b32_e32 v70, 4, v79
	v_mov_b32_e32 v45, v58
	v_mov_b32_e32 v47, v60
	global_load_dwordx4 v[58:61], v[48:49], off offset:768
	global_load_dwordx4 v[62:65], v70, s[8:9]
	global_load_dwordx4 v[66:69], v[48:49], off offset:3328
	v_mov_b32_e32 v40, s12
	v_mov_b32_e32 v41, s13
	v_lshl_add_u64 v[40:41], v[44:45], 4, v[40:41]
	v_mov_b32_e32 v78, 0x500
	v_lshl_add_u64 v[44:45], v[46:47], 4, v[40:41]
	s_mov_b32 s0, 0x1f81f820
	s_mul_i32 s2, s5, 0x500
	v_mad_u64_u32 v[46:47], s[6:7], s4, v78, v[44:45]
	s_mov_b32 s1, 0x3f4f81f8
	v_add_u32_e32 v47, s2, v47
	v_mad_u64_u32 v[48:49], s[6:7], s4, v78, v[46:47]
	v_add_u32_e32 v49, s2, v49
	s_movk_i32 s10, 0x3000
	s_mul_i32 s3, s5, 0xa00
	s_waitcnt vmcnt(9) lgkmcnt(4)
	v_mul_f64 v[70:71], v[30:31], v[2:3]
	v_mul_f64 v[2:3], v[28:29], v[2:3]
	s_waitcnt vmcnt(8) lgkmcnt(3)
	v_mul_f64 v[72:73], v[26:27], v[6:7]
	v_mul_f64 v[6:7], v[24:25], v[6:7]
	;; [unrolled: 3-line block ×3, first 2 shown]
	v_fmac_f64_e32 v[70:71], v[28:29], v[0:1]
	v_fma_f64 v[2:3], v[0:1], v[30:31], -v[2:3]
	v_fmac_f64_e32 v[72:73], v[24:25], v[4:5]
	v_fma_f64 v[6:7], v[4:5], v[26:27], -v[6:7]
	;; [unrolled: 2-line block ×3, first 2 shown]
	v_mul_f64 v[0:1], v[70:71], s[0:1]
	v_mul_f64 v[2:3], v[2:3], s[0:1]
	;; [unrolled: 1-line block ×6, first 2 shown]
	global_store_dwordx4 v[44:45], v[0:3], off
	global_store_dwordx4 v[46:47], v[4:7], off
	;; [unrolled: 1-line block ×3, first 2 shown]
	ds_read_b128 v[4:7], v144 offset:5120
	ds_read_b128 v[8:11], v144 offset:6400
	s_waitcnt vmcnt(9) lgkmcnt(3)
	v_mul_f64 v[76:77], v[34:35], v[14:15]
	v_mul_f64 v[14:15], v[32:33], v[14:15]
	v_add_co_u32_e32 v28, vcc, s10, v42
	v_fmac_f64_e32 v[76:77], v[32:33], v[12:13]
	v_fma_f64 v[14:15], v[12:13], v[34:35], -v[14:15]
	v_addc_co_u32_e32 v29, vcc, 0, v43, vcc
	v_mad_u64_u32 v[30:31], s[6:7], s4, v78, v[48:49]
	v_mul_f64 v[12:13], v[76:77], s[0:1]
	v_mul_f64 v[14:15], v[14:15], s[0:1]
	global_load_dwordx4 v[0:3], v[28:29], off offset:512
	global_load_dwordx4 v[24:27], v[28:29], off offset:1792
	v_add_u32_e32 v31, s2, v31
	global_store_dwordx4 v[30:31], v[12:15], off
	s_waitcnt vmcnt(11) lgkmcnt(1)
	s_nop 0
	v_mul_f64 v[12:13], v[6:7], v[18:19]
	v_fmac_f64_e32 v[12:13], v[4:5], v[16:17]
	v_mul_f64 v[4:5], v[4:5], v[18:19]
	v_fma_f64 v[4:5], v[16:17], v[6:7], -v[4:5]
	v_mad_u64_u32 v[16:17], s[6:7], s4, v78, v[30:31]
	v_mul_f64 v[12:13], v[12:13], s[0:1]
	v_mul_f64 v[14:15], v[4:5], s[0:1]
	v_add_u32_e32 v17, s2, v17
	global_store_dwordx4 v[16:17], v[12:15], off
	global_load_dwordx4 v[12:15], v[28:29], off offset:3072
	s_waitcnt vmcnt(12) lgkmcnt(0)
	v_mul_f64 v[4:5], v[10:11], v[22:23]
	v_mul_f64 v[6:7], v[8:9], v[22:23]
	v_fmac_f64_e32 v[4:5], v[8:9], v[20:21]
	v_fma_f64 v[6:7], v[20:21], v[10:11], -v[6:7]
	ds_read_b128 v[8:11], v144 offset:7680
	v_mad_u64_u32 v[20:21], s[6:7], s4, v78, v[16:17]
	v_mul_f64 v[4:5], v[4:5], s[0:1]
	v_mul_f64 v[6:7], v[6:7], s[0:1]
	v_add_u32_e32 v21, s2, v21
	global_store_dwordx4 v[20:21], v[4:7], off
	ds_read_b128 v[4:7], v144 offset:8960
	s_waitcnt vmcnt(12) lgkmcnt(1)
	v_mul_f64 v[16:17], v[10:11], v[56:57]
	v_fmac_f64_e32 v[16:17], v[8:9], v[54:55]
	v_mul_f64 v[8:9], v[8:9], v[56:57]
	v_fma_f64 v[8:9], v[54:55], v[10:11], -v[8:9]
	v_mul_f64 v[18:19], v[8:9], s[0:1]
	s_waitcnt vmcnt(11) lgkmcnt(0)
	v_mul_f64 v[8:9], v[6:7], v[60:61]
	v_fmac_f64_e32 v[8:9], v[4:5], v[58:59]
	v_mul_f64 v[4:5], v[4:5], v[60:61]
	v_fma_f64 v[4:5], v[58:59], v[6:7], -v[4:5]
	v_mul_f64 v[10:11], v[4:5], s[0:1]
	ds_read_b128 v[4:7], v144 offset:10240
	v_mad_u64_u32 v[20:21], s[6:7], s4, v78, v[20:21]
	v_mul_f64 v[16:17], v[16:17], s[0:1]
	v_add_u32_e32 v21, s2, v21
	global_store_dwordx4 v[20:21], v[16:19], off
	v_mad_u64_u32 v[20:21], s[6:7], s4, v78, v[20:21]
	v_mul_f64 v[8:9], v[8:9], s[0:1]
	v_add_u32_e32 v21, s2, v21
	global_store_dwordx4 v[20:21], v[8:11], off
	ds_read_b128 v[8:11], v144 offset:11520
	s_waitcnt vmcnt(12) lgkmcnt(1)
	v_mul_f64 v[16:17], v[6:7], v[64:65]
	v_fmac_f64_e32 v[16:17], v[4:5], v[62:63]
	v_mul_f64 v[4:5], v[4:5], v[64:65]
	v_fma_f64 v[4:5], v[62:63], v[6:7], -v[4:5]
	v_mul_f64 v[18:19], v[4:5], s[0:1]
	v_mad_u64_u32 v[4:5], s[6:7], s4, v79, 0
	v_mov_b32_e32 v6, v5
	v_mad_u64_u32 v[6:7], s[6:7], s5, v79, v[6:7]
	v_mov_b32_e32 v5, v6
	v_mul_f64 v[16:17], v[16:17], s[0:1]
	v_lshl_add_u64 v[4:5], v[4:5], 4, v[40:41]
	global_store_dwordx4 v[4:5], v[16:19], off
	s_waitcnt vmcnt(12) lgkmcnt(0)
	v_mul_f64 v[4:5], v[10:11], v[68:69]
	v_fmac_f64_e32 v[4:5], v[8:9], v[66:67]
	v_mul_f64 v[6:7], v[8:9], v[68:69]
	v_mov_b32_e32 v8, 0xa00
	v_fma_f64 v[6:7], v[66:67], v[10:11], -v[6:7]
	v_mad_u64_u32 v[20:21], s[6:7], s4, v8, v[20:21]
	ds_read_b128 v[8:11], v144 offset:12800
	v_mul_f64 v[4:5], v[4:5], s[0:1]
	v_mul_f64 v[6:7], v[6:7], s[0:1]
	v_add_u32_e32 v21, s3, v21
	global_store_dwordx4 v[20:21], v[4:7], off
	ds_read_b128 v[4:7], v144 offset:14080
	s_waitcnt vmcnt(9) lgkmcnt(1)
	v_mul_f64 v[16:17], v[10:11], v[2:3]
	v_mul_f64 v[2:3], v[8:9], v[2:3]
	v_fmac_f64_e32 v[16:17], v[8:9], v[0:1]
	v_fma_f64 v[0:1], v[0:1], v[10:11], -v[2:3]
	v_mad_u64_u32 v[8:9], s[6:7], s4, v78, v[20:21]
	v_mul_f64 v[18:19], v[0:1], s[0:1]
	v_add_u32_e32 v9, s2, v9
	s_waitcnt vmcnt(8) lgkmcnt(0)
	v_mul_f64 v[0:1], v[6:7], v[26:27]
	v_mul_f64 v[2:3], v[4:5], v[26:27]
	v_fmac_f64_e32 v[0:1], v[4:5], v[24:25]
	v_fma_f64 v[2:3], v[24:25], v[6:7], -v[2:3]
	v_mad_u64_u32 v[4:5], s[6:7], s4, v78, v[8:9]
	v_mul_f64 v[16:17], v[16:17], s[0:1]
	v_mul_f64 v[0:1], v[0:1], s[0:1]
	;; [unrolled: 1-line block ×3, first 2 shown]
	v_add_u32_e32 v5, s2, v5
	global_store_dwordx4 v[8:9], v[16:19], off
	global_store_dwordx4 v[4:5], v[0:3], off
	s_waitcnt vmcnt(7)
	s_nop 0
	v_mul_f64 v[0:1], v[52:53], v[14:15]
	v_mul_f64 v[2:3], v[50:51], v[14:15]
	v_fmac_f64_e32 v[0:1], v[50:51], v[12:13]
	v_fma_f64 v[2:3], v[12:13], v[52:53], -v[2:3]
	v_mul_f64 v[0:1], v[0:1], s[0:1]
	v_mul_f64 v[2:3], v[2:3], s[0:1]
	v_mad_u64_u32 v[4:5], s[0:1], s4, v78, v[4:5]
	v_add_u32_e32 v5, s2, v5
	global_store_dwordx4 v[4:5], v[0:3], off
.LBB0_23:
	s_endpgm
	.section	.rodata,"a",@progbits
	.p2align	6, 0x0
	.amdhsa_kernel bluestein_single_fwd_len1040_dim1_dp_op_CI_CI
		.amdhsa_group_segment_fixed_size 16640
		.amdhsa_private_segment_fixed_size 0
		.amdhsa_kernarg_size 104
		.amdhsa_user_sgpr_count 2
		.amdhsa_user_sgpr_dispatch_ptr 0
		.amdhsa_user_sgpr_queue_ptr 0
		.amdhsa_user_sgpr_kernarg_segment_ptr 1
		.amdhsa_user_sgpr_dispatch_id 0
		.amdhsa_user_sgpr_kernarg_preload_length 0
		.amdhsa_user_sgpr_kernarg_preload_offset 0
		.amdhsa_user_sgpr_private_segment_size 0
		.amdhsa_uses_dynamic_stack 0
		.amdhsa_enable_private_segment 0
		.amdhsa_system_sgpr_workgroup_id_x 1
		.amdhsa_system_sgpr_workgroup_id_y 0
		.amdhsa_system_sgpr_workgroup_id_z 0
		.amdhsa_system_sgpr_workgroup_info 0
		.amdhsa_system_vgpr_workitem_id 0
		.amdhsa_next_free_vgpr 196
		.amdhsa_next_free_sgpr 48
		.amdhsa_accum_offset 196
		.amdhsa_reserve_vcc 1
		.amdhsa_float_round_mode_32 0
		.amdhsa_float_round_mode_16_64 0
		.amdhsa_float_denorm_mode_32 3
		.amdhsa_float_denorm_mode_16_64 3
		.amdhsa_dx10_clamp 1
		.amdhsa_ieee_mode 1
		.amdhsa_fp16_overflow 0
		.amdhsa_tg_split 0
		.amdhsa_exception_fp_ieee_invalid_op 0
		.amdhsa_exception_fp_denorm_src 0
		.amdhsa_exception_fp_ieee_div_zero 0
		.amdhsa_exception_fp_ieee_overflow 0
		.amdhsa_exception_fp_ieee_underflow 0
		.amdhsa_exception_fp_ieee_inexact 0
		.amdhsa_exception_int_div_zero 0
	.end_amdhsa_kernel
	.text
.Lfunc_end0:
	.size	bluestein_single_fwd_len1040_dim1_dp_op_CI_CI, .Lfunc_end0-bluestein_single_fwd_len1040_dim1_dp_op_CI_CI
                                        ; -- End function
	.section	.AMDGPU.csdata,"",@progbits
; Kernel info:
; codeLenInByte = 16172
; NumSgprs: 54
; NumVgprs: 196
; NumAgprs: 0
; TotalNumVgprs: 196
; ScratchSize: 0
; MemoryBound: 0
; FloatMode: 240
; IeeeMode: 1
; LDSByteSize: 16640 bytes/workgroup (compile time only)
; SGPRBlocks: 6
; VGPRBlocks: 24
; NumSGPRsForWavesPerEU: 54
; NumVGPRsForWavesPerEU: 196
; AccumOffset: 196
; Occupancy: 2
; WaveLimiterHint : 1
; COMPUTE_PGM_RSRC2:SCRATCH_EN: 0
; COMPUTE_PGM_RSRC2:USER_SGPR: 2
; COMPUTE_PGM_RSRC2:TRAP_HANDLER: 0
; COMPUTE_PGM_RSRC2:TGID_X_EN: 1
; COMPUTE_PGM_RSRC2:TGID_Y_EN: 0
; COMPUTE_PGM_RSRC2:TGID_Z_EN: 0
; COMPUTE_PGM_RSRC2:TIDIG_COMP_CNT: 0
; COMPUTE_PGM_RSRC3_GFX90A:ACCUM_OFFSET: 48
; COMPUTE_PGM_RSRC3_GFX90A:TG_SPLIT: 0
	.text
	.p2alignl 6, 3212836864
	.fill 256, 4, 3212836864
	.type	__hip_cuid_3d52a6fc58df140c,@object ; @__hip_cuid_3d52a6fc58df140c
	.section	.bss,"aw",@nobits
	.globl	__hip_cuid_3d52a6fc58df140c
__hip_cuid_3d52a6fc58df140c:
	.byte	0                               ; 0x0
	.size	__hip_cuid_3d52a6fc58df140c, 1

	.ident	"AMD clang version 19.0.0git (https://github.com/RadeonOpenCompute/llvm-project roc-6.4.0 25133 c7fe45cf4b819c5991fe208aaa96edf142730f1d)"
	.section	".note.GNU-stack","",@progbits
	.addrsig
	.addrsig_sym __hip_cuid_3d52a6fc58df140c
	.amdgpu_metadata
---
amdhsa.kernels:
  - .agpr_count:     0
    .args:
      - .actual_access:  read_only
        .address_space:  global
        .offset:         0
        .size:           8
        .value_kind:     global_buffer
      - .actual_access:  read_only
        .address_space:  global
        .offset:         8
        .size:           8
        .value_kind:     global_buffer
      - .actual_access:  read_only
        .address_space:  global
        .offset:         16
        .size:           8
        .value_kind:     global_buffer
      - .actual_access:  read_only
        .address_space:  global
        .offset:         24
        .size:           8
        .value_kind:     global_buffer
      - .actual_access:  read_only
        .address_space:  global
        .offset:         32
        .size:           8
        .value_kind:     global_buffer
      - .offset:         40
        .size:           8
        .value_kind:     by_value
      - .address_space:  global
        .offset:         48
        .size:           8
        .value_kind:     global_buffer
      - .address_space:  global
        .offset:         56
        .size:           8
        .value_kind:     global_buffer
      - .address_space:  global
        .offset:         64
        .size:           8
        .value_kind:     global_buffer
      - .address_space:  global
        .offset:         72
        .size:           8
        .value_kind:     global_buffer
      - .offset:         80
        .size:           4
        .value_kind:     by_value
      - .address_space:  global
        .offset:         88
        .size:           8
        .value_kind:     global_buffer
      - .address_space:  global
        .offset:         96
        .size:           8
        .value_kind:     global_buffer
    .group_segment_fixed_size: 16640
    .kernarg_segment_align: 8
    .kernarg_segment_size: 104
    .language:       OpenCL C
    .language_version:
      - 2
      - 0
    .max_flat_workgroup_size: 208
    .name:           bluestein_single_fwd_len1040_dim1_dp_op_CI_CI
    .private_segment_fixed_size: 0
    .sgpr_count:     54
    .sgpr_spill_count: 0
    .symbol:         bluestein_single_fwd_len1040_dim1_dp_op_CI_CI.kd
    .uniform_work_group_size: 1
    .uses_dynamic_stack: false
    .vgpr_count:     196
    .vgpr_spill_count: 0
    .wavefront_size: 64
amdhsa.target:   amdgcn-amd-amdhsa--gfx950
amdhsa.version:
  - 1
  - 2
...

	.end_amdgpu_metadata
